;; amdgpu-corpus repo=ROCm/hipCUB kind=compiled arch=gfx906 opt=O3
	.amdgcn_target "amdgcn-amd-amdhsa--gfx906"
	.amdhsa_code_object_version 6
	.section	.text._Z17warp_store_kernelILj256ELj4ELj32ELN6hipcub18WarpStoreAlgorithmE0EiEvPT3_,"axG",@progbits,_Z17warp_store_kernelILj256ELj4ELj32ELN6hipcub18WarpStoreAlgorithmE0EiEvPT3_,comdat
	.protected	_Z17warp_store_kernelILj256ELj4ELj32ELN6hipcub18WarpStoreAlgorithmE0EiEvPT3_ ; -- Begin function _Z17warp_store_kernelILj256ELj4ELj32ELN6hipcub18WarpStoreAlgorithmE0EiEvPT3_
	.globl	_Z17warp_store_kernelILj256ELj4ELj32ELN6hipcub18WarpStoreAlgorithmE0EiEvPT3_
	.p2align	8
	.type	_Z17warp_store_kernelILj256ELj4ELj32ELN6hipcub18WarpStoreAlgorithmE0EiEvPT3_,@function
_Z17warp_store_kernelILj256ELj4ELj32ELN6hipcub18WarpStoreAlgorithmE0EiEvPT3_: ; @_Z17warp_store_kernelILj256ELj4ELj32ELN6hipcub18WarpStoreAlgorithmE0EiEvPT3_
; %bb.0:
	s_load_dwordx2 s[0:1], s[4:5], 0x0
	v_lshlrev_b32_e32 v0, 2, v0
	v_and_b32_e32 v0, 0x380, v0
	v_mbcnt_lo_u32_b32 v1, -1, 0
	v_lshl_or_b32 v3, s6, 10, v0
	v_mov_b32_e32 v4, 0
	v_mbcnt_hi_u32_b32 v2, -1, v1
	v_lshlrev_b64 v[0:1], 2, v[3:4]
	s_waitcnt lgkmcnt(0)
	v_mov_b32_e32 v3, s1
	v_add_co_u32_e32 v0, vcc, s0, v0
	v_lshlrev_b32_e32 v2, 4, v2
	v_addc_co_u32_e32 v1, vcc, v3, v1, vcc
	v_and_b32_e32 v2, 0x1f0, v2
	v_add_co_u32_e32 v5, vcc, v0, v2
	v_addc_co_u32_e32 v6, vcc, 0, v1, vcc
	v_mov_b32_e32 v1, 1
	v_mov_b32_e32 v2, 2
	;; [unrolled: 1-line block ×4, first 2 shown]
	global_store_dwordx4 v[5:6], v[0:3], off
	s_endpgm
	.section	.rodata,"a",@progbits
	.p2align	6, 0x0
	.amdhsa_kernel _Z17warp_store_kernelILj256ELj4ELj32ELN6hipcub18WarpStoreAlgorithmE0EiEvPT3_
		.amdhsa_group_segment_fixed_size 0
		.amdhsa_private_segment_fixed_size 0
		.amdhsa_kernarg_size 8
		.amdhsa_user_sgpr_count 6
		.amdhsa_user_sgpr_private_segment_buffer 1
		.amdhsa_user_sgpr_dispatch_ptr 0
		.amdhsa_user_sgpr_queue_ptr 0
		.amdhsa_user_sgpr_kernarg_segment_ptr 1
		.amdhsa_user_sgpr_dispatch_id 0
		.amdhsa_user_sgpr_flat_scratch_init 0
		.amdhsa_user_sgpr_private_segment_size 0
		.amdhsa_uses_dynamic_stack 0
		.amdhsa_system_sgpr_private_segment_wavefront_offset 0
		.amdhsa_system_sgpr_workgroup_id_x 1
		.amdhsa_system_sgpr_workgroup_id_y 0
		.amdhsa_system_sgpr_workgroup_id_z 0
		.amdhsa_system_sgpr_workgroup_info 0
		.amdhsa_system_vgpr_workitem_id 0
		.amdhsa_next_free_vgpr 7
		.amdhsa_next_free_sgpr 7
		.amdhsa_reserve_vcc 1
		.amdhsa_reserve_flat_scratch 0
		.amdhsa_float_round_mode_32 0
		.amdhsa_float_round_mode_16_64 0
		.amdhsa_float_denorm_mode_32 3
		.amdhsa_float_denorm_mode_16_64 3
		.amdhsa_dx10_clamp 1
		.amdhsa_ieee_mode 1
		.amdhsa_fp16_overflow 0
		.amdhsa_exception_fp_ieee_invalid_op 0
		.amdhsa_exception_fp_denorm_src 0
		.amdhsa_exception_fp_ieee_div_zero 0
		.amdhsa_exception_fp_ieee_overflow 0
		.amdhsa_exception_fp_ieee_underflow 0
		.amdhsa_exception_fp_ieee_inexact 0
		.amdhsa_exception_int_div_zero 0
	.end_amdhsa_kernel
	.section	.text._Z17warp_store_kernelILj256ELj4ELj32ELN6hipcub18WarpStoreAlgorithmE0EiEvPT3_,"axG",@progbits,_Z17warp_store_kernelILj256ELj4ELj32ELN6hipcub18WarpStoreAlgorithmE0EiEvPT3_,comdat
.Lfunc_end0:
	.size	_Z17warp_store_kernelILj256ELj4ELj32ELN6hipcub18WarpStoreAlgorithmE0EiEvPT3_, .Lfunc_end0-_Z17warp_store_kernelILj256ELj4ELj32ELN6hipcub18WarpStoreAlgorithmE0EiEvPT3_
                                        ; -- End function
	.set _Z17warp_store_kernelILj256ELj4ELj32ELN6hipcub18WarpStoreAlgorithmE0EiEvPT3_.num_vgpr, 7
	.set _Z17warp_store_kernelILj256ELj4ELj32ELN6hipcub18WarpStoreAlgorithmE0EiEvPT3_.num_agpr, 0
	.set _Z17warp_store_kernelILj256ELj4ELj32ELN6hipcub18WarpStoreAlgorithmE0EiEvPT3_.numbered_sgpr, 7
	.set _Z17warp_store_kernelILj256ELj4ELj32ELN6hipcub18WarpStoreAlgorithmE0EiEvPT3_.num_named_barrier, 0
	.set _Z17warp_store_kernelILj256ELj4ELj32ELN6hipcub18WarpStoreAlgorithmE0EiEvPT3_.private_seg_size, 0
	.set _Z17warp_store_kernelILj256ELj4ELj32ELN6hipcub18WarpStoreAlgorithmE0EiEvPT3_.uses_vcc, 1
	.set _Z17warp_store_kernelILj256ELj4ELj32ELN6hipcub18WarpStoreAlgorithmE0EiEvPT3_.uses_flat_scratch, 0
	.set _Z17warp_store_kernelILj256ELj4ELj32ELN6hipcub18WarpStoreAlgorithmE0EiEvPT3_.has_dyn_sized_stack, 0
	.set _Z17warp_store_kernelILj256ELj4ELj32ELN6hipcub18WarpStoreAlgorithmE0EiEvPT3_.has_recursion, 0
	.set _Z17warp_store_kernelILj256ELj4ELj32ELN6hipcub18WarpStoreAlgorithmE0EiEvPT3_.has_indirect_call, 0
	.section	.AMDGPU.csdata,"",@progbits
; Kernel info:
; codeLenInByte = 120
; TotalNumSgprs: 11
; NumVgprs: 7
; ScratchSize: 0
; MemoryBound: 0
; FloatMode: 240
; IeeeMode: 1
; LDSByteSize: 0 bytes/workgroup (compile time only)
; SGPRBlocks: 1
; VGPRBlocks: 1
; NumSGPRsForWavesPerEU: 11
; NumVGPRsForWavesPerEU: 7
; Occupancy: 10
; WaveLimiterHint : 0
; COMPUTE_PGM_RSRC2:SCRATCH_EN: 0
; COMPUTE_PGM_RSRC2:USER_SGPR: 6
; COMPUTE_PGM_RSRC2:TRAP_HANDLER: 0
; COMPUTE_PGM_RSRC2:TGID_X_EN: 1
; COMPUTE_PGM_RSRC2:TGID_Y_EN: 0
; COMPUTE_PGM_RSRC2:TGID_Z_EN: 0
; COMPUTE_PGM_RSRC2:TIDIG_COMP_CNT: 0
	.section	.text._Z17warp_store_kernelILj256ELj4ELj32ELN6hipcub18WarpStoreAlgorithmE1EiEvPT3_,"axG",@progbits,_Z17warp_store_kernelILj256ELj4ELj32ELN6hipcub18WarpStoreAlgorithmE1EiEvPT3_,comdat
	.protected	_Z17warp_store_kernelILj256ELj4ELj32ELN6hipcub18WarpStoreAlgorithmE1EiEvPT3_ ; -- Begin function _Z17warp_store_kernelILj256ELj4ELj32ELN6hipcub18WarpStoreAlgorithmE1EiEvPT3_
	.globl	_Z17warp_store_kernelILj256ELj4ELj32ELN6hipcub18WarpStoreAlgorithmE1EiEvPT3_
	.p2align	8
	.type	_Z17warp_store_kernelILj256ELj4ELj32ELN6hipcub18WarpStoreAlgorithmE1EiEvPT3_,@function
_Z17warp_store_kernelILj256ELj4ELj32ELN6hipcub18WarpStoreAlgorithmE1EiEvPT3_: ; @_Z17warp_store_kernelILj256ELj4ELj32ELN6hipcub18WarpStoreAlgorithmE1EiEvPT3_
; %bb.0:
	s_load_dwordx2 s[0:1], s[4:5], 0x0
	v_lshlrev_b32_e32 v0, 2, v0
	v_mbcnt_lo_u32_b32 v2, -1, 0
	v_and_b32_e32 v0, 0x380, v0
	v_mov_b32_e32 v1, 0
	v_mbcnt_hi_u32_b32 v2, -1, v2
	v_lshl_or_b32 v0, s6, 10, v0
	v_and_b32_e32 v4, 31, v2
	v_lshlrev_b64 v[2:3], 2, v[0:1]
	s_waitcnt lgkmcnt(0)
	v_mov_b32_e32 v0, s1
	v_add_co_u32_e32 v2, vcc, s0, v2
	v_addc_co_u32_e32 v0, vcc, v0, v3, vcc
	v_lshlrev_b32_e32 v3, 2, v4
	v_add_co_u32_e32 v2, vcc, v2, v3
	v_addc_co_u32_e32 v3, vcc, 0, v0, vcc
	v_mov_b32_e32 v0, 1
	v_mov_b32_e32 v5, 2
	global_store_dword v[2:3], v1, off
	global_store_dword v[2:3], v0, off offset:128
	global_store_dword v[2:3], v5, off offset:256
	v_mov_b32_e32 v0, 3
	global_store_dword v[2:3], v0, off offset:384
	s_endpgm
	.section	.rodata,"a",@progbits
	.p2align	6, 0x0
	.amdhsa_kernel _Z17warp_store_kernelILj256ELj4ELj32ELN6hipcub18WarpStoreAlgorithmE1EiEvPT3_
		.amdhsa_group_segment_fixed_size 0
		.amdhsa_private_segment_fixed_size 0
		.amdhsa_kernarg_size 8
		.amdhsa_user_sgpr_count 6
		.amdhsa_user_sgpr_private_segment_buffer 1
		.amdhsa_user_sgpr_dispatch_ptr 0
		.amdhsa_user_sgpr_queue_ptr 0
		.amdhsa_user_sgpr_kernarg_segment_ptr 1
		.amdhsa_user_sgpr_dispatch_id 0
		.amdhsa_user_sgpr_flat_scratch_init 0
		.amdhsa_user_sgpr_private_segment_size 0
		.amdhsa_uses_dynamic_stack 0
		.amdhsa_system_sgpr_private_segment_wavefront_offset 0
		.amdhsa_system_sgpr_workgroup_id_x 1
		.amdhsa_system_sgpr_workgroup_id_y 0
		.amdhsa_system_sgpr_workgroup_id_z 0
		.amdhsa_system_sgpr_workgroup_info 0
		.amdhsa_system_vgpr_workitem_id 0
		.amdhsa_next_free_vgpr 6
		.amdhsa_next_free_sgpr 7
		.amdhsa_reserve_vcc 1
		.amdhsa_reserve_flat_scratch 0
		.amdhsa_float_round_mode_32 0
		.amdhsa_float_round_mode_16_64 0
		.amdhsa_float_denorm_mode_32 3
		.amdhsa_float_denorm_mode_16_64 3
		.amdhsa_dx10_clamp 1
		.amdhsa_ieee_mode 1
		.amdhsa_fp16_overflow 0
		.amdhsa_exception_fp_ieee_invalid_op 0
		.amdhsa_exception_fp_denorm_src 0
		.amdhsa_exception_fp_ieee_div_zero 0
		.amdhsa_exception_fp_ieee_overflow 0
		.amdhsa_exception_fp_ieee_underflow 0
		.amdhsa_exception_fp_ieee_inexact 0
		.amdhsa_exception_int_div_zero 0
	.end_amdhsa_kernel
	.section	.text._Z17warp_store_kernelILj256ELj4ELj32ELN6hipcub18WarpStoreAlgorithmE1EiEvPT3_,"axG",@progbits,_Z17warp_store_kernelILj256ELj4ELj32ELN6hipcub18WarpStoreAlgorithmE1EiEvPT3_,comdat
.Lfunc_end1:
	.size	_Z17warp_store_kernelILj256ELj4ELj32ELN6hipcub18WarpStoreAlgorithmE1EiEvPT3_, .Lfunc_end1-_Z17warp_store_kernelILj256ELj4ELj32ELN6hipcub18WarpStoreAlgorithmE1EiEvPT3_
                                        ; -- End function
	.set _Z17warp_store_kernelILj256ELj4ELj32ELN6hipcub18WarpStoreAlgorithmE1EiEvPT3_.num_vgpr, 6
	.set _Z17warp_store_kernelILj256ELj4ELj32ELN6hipcub18WarpStoreAlgorithmE1EiEvPT3_.num_agpr, 0
	.set _Z17warp_store_kernelILj256ELj4ELj32ELN6hipcub18WarpStoreAlgorithmE1EiEvPT3_.numbered_sgpr, 7
	.set _Z17warp_store_kernelILj256ELj4ELj32ELN6hipcub18WarpStoreAlgorithmE1EiEvPT3_.num_named_barrier, 0
	.set _Z17warp_store_kernelILj256ELj4ELj32ELN6hipcub18WarpStoreAlgorithmE1EiEvPT3_.private_seg_size, 0
	.set _Z17warp_store_kernelILj256ELj4ELj32ELN6hipcub18WarpStoreAlgorithmE1EiEvPT3_.uses_vcc, 1
	.set _Z17warp_store_kernelILj256ELj4ELj32ELN6hipcub18WarpStoreAlgorithmE1EiEvPT3_.uses_flat_scratch, 0
	.set _Z17warp_store_kernelILj256ELj4ELj32ELN6hipcub18WarpStoreAlgorithmE1EiEvPT3_.has_dyn_sized_stack, 0
	.set _Z17warp_store_kernelILj256ELj4ELj32ELN6hipcub18WarpStoreAlgorithmE1EiEvPT3_.has_recursion, 0
	.set _Z17warp_store_kernelILj256ELj4ELj32ELN6hipcub18WarpStoreAlgorithmE1EiEvPT3_.has_indirect_call, 0
	.section	.AMDGPU.csdata,"",@progbits
; Kernel info:
; codeLenInByte = 136
; TotalNumSgprs: 11
; NumVgprs: 6
; ScratchSize: 0
; MemoryBound: 0
; FloatMode: 240
; IeeeMode: 1
; LDSByteSize: 0 bytes/workgroup (compile time only)
; SGPRBlocks: 1
; VGPRBlocks: 1
; NumSGPRsForWavesPerEU: 11
; NumVGPRsForWavesPerEU: 6
; Occupancy: 10
; WaveLimiterHint : 1
; COMPUTE_PGM_RSRC2:SCRATCH_EN: 0
; COMPUTE_PGM_RSRC2:USER_SGPR: 6
; COMPUTE_PGM_RSRC2:TRAP_HANDLER: 0
; COMPUTE_PGM_RSRC2:TGID_X_EN: 1
; COMPUTE_PGM_RSRC2:TGID_Y_EN: 0
; COMPUTE_PGM_RSRC2:TGID_Z_EN: 0
; COMPUTE_PGM_RSRC2:TIDIG_COMP_CNT: 0
	.section	.text._Z17warp_store_kernelILj256ELj4ELj32ELN6hipcub18WarpStoreAlgorithmE2EiEvPT3_,"axG",@progbits,_Z17warp_store_kernelILj256ELj4ELj32ELN6hipcub18WarpStoreAlgorithmE2EiEvPT3_,comdat
	.protected	_Z17warp_store_kernelILj256ELj4ELj32ELN6hipcub18WarpStoreAlgorithmE2EiEvPT3_ ; -- Begin function _Z17warp_store_kernelILj256ELj4ELj32ELN6hipcub18WarpStoreAlgorithmE2EiEvPT3_
	.globl	_Z17warp_store_kernelILj256ELj4ELj32ELN6hipcub18WarpStoreAlgorithmE2EiEvPT3_
	.p2align	8
	.type	_Z17warp_store_kernelILj256ELj4ELj32ELN6hipcub18WarpStoreAlgorithmE2EiEvPT3_,@function
_Z17warp_store_kernelILj256ELj4ELj32ELN6hipcub18WarpStoreAlgorithmE2EiEvPT3_: ; @_Z17warp_store_kernelILj256ELj4ELj32ELN6hipcub18WarpStoreAlgorithmE2EiEvPT3_
; %bb.0:
	s_load_dwordx2 s[0:1], s[4:5], 0x0
	v_lshlrev_b32_e32 v0, 2, v0
	v_mbcnt_lo_u32_b32 v1, -1, 0
	v_and_b32_e32 v0, 0x380, v0
	v_mbcnt_hi_u32_b32 v1, -1, v1
	v_lshl_or_b32 v3, s6, 10, v0
	v_mov_b32_e32 v4, 0
	v_and_b32_e32 v2, 31, v1
	v_lshlrev_b64 v[0:1], 2, v[3:4]
	s_waitcnt lgkmcnt(0)
	v_mov_b32_e32 v3, s1
	v_add_co_u32_e32 v0, vcc, s0, v0
	v_addc_co_u32_e32 v1, vcc, v3, v1, vcc
	v_lshlrev_b32_e32 v2, 4, v2
	v_add_co_u32_e32 v5, vcc, v0, v2
	v_addc_co_u32_e32 v6, vcc, 0, v1, vcc
	v_mov_b32_e32 v1, 1
	v_mov_b32_e32 v2, 2
	;; [unrolled: 1-line block ×4, first 2 shown]
	global_store_dwordx4 v[5:6], v[0:3], off
	s_endpgm
	.section	.rodata,"a",@progbits
	.p2align	6, 0x0
	.amdhsa_kernel _Z17warp_store_kernelILj256ELj4ELj32ELN6hipcub18WarpStoreAlgorithmE2EiEvPT3_
		.amdhsa_group_segment_fixed_size 0
		.amdhsa_private_segment_fixed_size 0
		.amdhsa_kernarg_size 8
		.amdhsa_user_sgpr_count 6
		.amdhsa_user_sgpr_private_segment_buffer 1
		.amdhsa_user_sgpr_dispatch_ptr 0
		.amdhsa_user_sgpr_queue_ptr 0
		.amdhsa_user_sgpr_kernarg_segment_ptr 1
		.amdhsa_user_sgpr_dispatch_id 0
		.amdhsa_user_sgpr_flat_scratch_init 0
		.amdhsa_user_sgpr_private_segment_size 0
		.amdhsa_uses_dynamic_stack 0
		.amdhsa_system_sgpr_private_segment_wavefront_offset 0
		.amdhsa_system_sgpr_workgroup_id_x 1
		.amdhsa_system_sgpr_workgroup_id_y 0
		.amdhsa_system_sgpr_workgroup_id_z 0
		.amdhsa_system_sgpr_workgroup_info 0
		.amdhsa_system_vgpr_workitem_id 0
		.amdhsa_next_free_vgpr 7
		.amdhsa_next_free_sgpr 7
		.amdhsa_reserve_vcc 1
		.amdhsa_reserve_flat_scratch 0
		.amdhsa_float_round_mode_32 0
		.amdhsa_float_round_mode_16_64 0
		.amdhsa_float_denorm_mode_32 3
		.amdhsa_float_denorm_mode_16_64 3
		.amdhsa_dx10_clamp 1
		.amdhsa_ieee_mode 1
		.amdhsa_fp16_overflow 0
		.amdhsa_exception_fp_ieee_invalid_op 0
		.amdhsa_exception_fp_denorm_src 0
		.amdhsa_exception_fp_ieee_div_zero 0
		.amdhsa_exception_fp_ieee_overflow 0
		.amdhsa_exception_fp_ieee_underflow 0
		.amdhsa_exception_fp_ieee_inexact 0
		.amdhsa_exception_int_div_zero 0
	.end_amdhsa_kernel
	.section	.text._Z17warp_store_kernelILj256ELj4ELj32ELN6hipcub18WarpStoreAlgorithmE2EiEvPT3_,"axG",@progbits,_Z17warp_store_kernelILj256ELj4ELj32ELN6hipcub18WarpStoreAlgorithmE2EiEvPT3_,comdat
.Lfunc_end2:
	.size	_Z17warp_store_kernelILj256ELj4ELj32ELN6hipcub18WarpStoreAlgorithmE2EiEvPT3_, .Lfunc_end2-_Z17warp_store_kernelILj256ELj4ELj32ELN6hipcub18WarpStoreAlgorithmE2EiEvPT3_
                                        ; -- End function
	.set _Z17warp_store_kernelILj256ELj4ELj32ELN6hipcub18WarpStoreAlgorithmE2EiEvPT3_.num_vgpr, 7
	.set _Z17warp_store_kernelILj256ELj4ELj32ELN6hipcub18WarpStoreAlgorithmE2EiEvPT3_.num_agpr, 0
	.set _Z17warp_store_kernelILj256ELj4ELj32ELN6hipcub18WarpStoreAlgorithmE2EiEvPT3_.numbered_sgpr, 7
	.set _Z17warp_store_kernelILj256ELj4ELj32ELN6hipcub18WarpStoreAlgorithmE2EiEvPT3_.num_named_barrier, 0
	.set _Z17warp_store_kernelILj256ELj4ELj32ELN6hipcub18WarpStoreAlgorithmE2EiEvPT3_.private_seg_size, 0
	.set _Z17warp_store_kernelILj256ELj4ELj32ELN6hipcub18WarpStoreAlgorithmE2EiEvPT3_.uses_vcc, 1
	.set _Z17warp_store_kernelILj256ELj4ELj32ELN6hipcub18WarpStoreAlgorithmE2EiEvPT3_.uses_flat_scratch, 0
	.set _Z17warp_store_kernelILj256ELj4ELj32ELN6hipcub18WarpStoreAlgorithmE2EiEvPT3_.has_dyn_sized_stack, 0
	.set _Z17warp_store_kernelILj256ELj4ELj32ELN6hipcub18WarpStoreAlgorithmE2EiEvPT3_.has_recursion, 0
	.set _Z17warp_store_kernelILj256ELj4ELj32ELN6hipcub18WarpStoreAlgorithmE2EiEvPT3_.has_indirect_call, 0
	.section	.AMDGPU.csdata,"",@progbits
; Kernel info:
; codeLenInByte = 116
; TotalNumSgprs: 11
; NumVgprs: 7
; ScratchSize: 0
; MemoryBound: 0
; FloatMode: 240
; IeeeMode: 1
; LDSByteSize: 0 bytes/workgroup (compile time only)
; SGPRBlocks: 1
; VGPRBlocks: 1
; NumSGPRsForWavesPerEU: 11
; NumVGPRsForWavesPerEU: 7
; Occupancy: 10
; WaveLimiterHint : 0
; COMPUTE_PGM_RSRC2:SCRATCH_EN: 0
; COMPUTE_PGM_RSRC2:USER_SGPR: 6
; COMPUTE_PGM_RSRC2:TRAP_HANDLER: 0
; COMPUTE_PGM_RSRC2:TGID_X_EN: 1
; COMPUTE_PGM_RSRC2:TGID_Y_EN: 0
; COMPUTE_PGM_RSRC2:TGID_Z_EN: 0
; COMPUTE_PGM_RSRC2:TIDIG_COMP_CNT: 0
	.section	.text._Z17warp_store_kernelILj256ELj4ELj32ELN6hipcub18WarpStoreAlgorithmE3EiEvPT3_,"axG",@progbits,_Z17warp_store_kernelILj256ELj4ELj32ELN6hipcub18WarpStoreAlgorithmE3EiEvPT3_,comdat
	.protected	_Z17warp_store_kernelILj256ELj4ELj32ELN6hipcub18WarpStoreAlgorithmE3EiEvPT3_ ; -- Begin function _Z17warp_store_kernelILj256ELj4ELj32ELN6hipcub18WarpStoreAlgorithmE3EiEvPT3_
	.globl	_Z17warp_store_kernelILj256ELj4ELj32ELN6hipcub18WarpStoreAlgorithmE3EiEvPT3_
	.p2align	8
	.type	_Z17warp_store_kernelILj256ELj4ELj32ELN6hipcub18WarpStoreAlgorithmE3EiEvPT3_,@function
_Z17warp_store_kernelILj256ELj4ELj32ELN6hipcub18WarpStoreAlgorithmE3EiEvPT3_: ; @_Z17warp_store_kernelILj256ELj4ELj32ELN6hipcub18WarpStoreAlgorithmE3EiEvPT3_
; %bb.0:
	s_load_dwordx2 s[0:1], s[4:5], 0x0
	v_lshrrev_b32_e32 v2, 5, v0
	v_mbcnt_lo_u32_b32 v0, -1, 0
	s_lshl_b32 s2, s6, 10
	v_mbcnt_hi_u32_b32 v0, -1, v0
	v_lshl_or_b32 v3, v2, 7, s2
	v_mov_b32_e32 v4, 0
	v_and_b32_e32 v5, 31, v0
	v_lshlrev_b64 v[0:1], 2, v[3:4]
	s_waitcnt lgkmcnt(0)
	v_mov_b32_e32 v3, s1
	v_add_co_u32_e32 v6, vcc, s0, v0
	v_lshlrev_b32_e32 v0, 4, v5
	v_addc_co_u32_e32 v7, vcc, v3, v1, vcc
	v_lshl_or_b32 v8, v2, 9, v0
	v_mov_b32_e32 v1, 1
	v_mov_b32_e32 v2, 2
	;; [unrolled: 1-line block ×4, first 2 shown]
	ds_write_b128 v8, v[0:3]
	v_mad_i32_i24 v2, v5, -12, v8
	; wave barrier
	ds_read2_b32 v[0:1], v2 offset1:32
	ds_read2_b32 v[2:3], v2 offset0:64 offset1:96
	v_lshlrev_b32_e32 v4, 2, v5
	v_add_co_u32_e32 v4, vcc, v6, v4
	v_addc_co_u32_e32 v5, vcc, 0, v7, vcc
	s_waitcnt lgkmcnt(1)
	global_store_dword v[4:5], v0, off
	global_store_dword v[4:5], v1, off offset:128
	s_waitcnt lgkmcnt(0)
	global_store_dword v[4:5], v2, off offset:256
	global_store_dword v[4:5], v3, off offset:384
	s_endpgm
	.section	.rodata,"a",@progbits
	.p2align	6, 0x0
	.amdhsa_kernel _Z17warp_store_kernelILj256ELj4ELj32ELN6hipcub18WarpStoreAlgorithmE3EiEvPT3_
		.amdhsa_group_segment_fixed_size 4096
		.amdhsa_private_segment_fixed_size 0
		.amdhsa_kernarg_size 8
		.amdhsa_user_sgpr_count 6
		.amdhsa_user_sgpr_private_segment_buffer 1
		.amdhsa_user_sgpr_dispatch_ptr 0
		.amdhsa_user_sgpr_queue_ptr 0
		.amdhsa_user_sgpr_kernarg_segment_ptr 1
		.amdhsa_user_sgpr_dispatch_id 0
		.amdhsa_user_sgpr_flat_scratch_init 0
		.amdhsa_user_sgpr_private_segment_size 0
		.amdhsa_uses_dynamic_stack 0
		.amdhsa_system_sgpr_private_segment_wavefront_offset 0
		.amdhsa_system_sgpr_workgroup_id_x 1
		.amdhsa_system_sgpr_workgroup_id_y 0
		.amdhsa_system_sgpr_workgroup_id_z 0
		.amdhsa_system_sgpr_workgroup_info 0
		.amdhsa_system_vgpr_workitem_id 0
		.amdhsa_next_free_vgpr 9
		.amdhsa_next_free_sgpr 7
		.amdhsa_reserve_vcc 1
		.amdhsa_reserve_flat_scratch 0
		.amdhsa_float_round_mode_32 0
		.amdhsa_float_round_mode_16_64 0
		.amdhsa_float_denorm_mode_32 3
		.amdhsa_float_denorm_mode_16_64 3
		.amdhsa_dx10_clamp 1
		.amdhsa_ieee_mode 1
		.amdhsa_fp16_overflow 0
		.amdhsa_exception_fp_ieee_invalid_op 0
		.amdhsa_exception_fp_denorm_src 0
		.amdhsa_exception_fp_ieee_div_zero 0
		.amdhsa_exception_fp_ieee_overflow 0
		.amdhsa_exception_fp_ieee_underflow 0
		.amdhsa_exception_fp_ieee_inexact 0
		.amdhsa_exception_int_div_zero 0
	.end_amdhsa_kernel
	.section	.text._Z17warp_store_kernelILj256ELj4ELj32ELN6hipcub18WarpStoreAlgorithmE3EiEvPT3_,"axG",@progbits,_Z17warp_store_kernelILj256ELj4ELj32ELN6hipcub18WarpStoreAlgorithmE3EiEvPT3_,comdat
.Lfunc_end3:
	.size	_Z17warp_store_kernelILj256ELj4ELj32ELN6hipcub18WarpStoreAlgorithmE3EiEvPT3_, .Lfunc_end3-_Z17warp_store_kernelILj256ELj4ELj32ELN6hipcub18WarpStoreAlgorithmE3EiEvPT3_
                                        ; -- End function
	.set _Z17warp_store_kernelILj256ELj4ELj32ELN6hipcub18WarpStoreAlgorithmE3EiEvPT3_.num_vgpr, 9
	.set _Z17warp_store_kernelILj256ELj4ELj32ELN6hipcub18WarpStoreAlgorithmE3EiEvPT3_.num_agpr, 0
	.set _Z17warp_store_kernelILj256ELj4ELj32ELN6hipcub18WarpStoreAlgorithmE3EiEvPT3_.numbered_sgpr, 7
	.set _Z17warp_store_kernelILj256ELj4ELj32ELN6hipcub18WarpStoreAlgorithmE3EiEvPT3_.num_named_barrier, 0
	.set _Z17warp_store_kernelILj256ELj4ELj32ELN6hipcub18WarpStoreAlgorithmE3EiEvPT3_.private_seg_size, 0
	.set _Z17warp_store_kernelILj256ELj4ELj32ELN6hipcub18WarpStoreAlgorithmE3EiEvPT3_.uses_vcc, 1
	.set _Z17warp_store_kernelILj256ELj4ELj32ELN6hipcub18WarpStoreAlgorithmE3EiEvPT3_.uses_flat_scratch, 0
	.set _Z17warp_store_kernelILj256ELj4ELj32ELN6hipcub18WarpStoreAlgorithmE3EiEvPT3_.has_dyn_sized_stack, 0
	.set _Z17warp_store_kernelILj256ELj4ELj32ELN6hipcub18WarpStoreAlgorithmE3EiEvPT3_.has_recursion, 0
	.set _Z17warp_store_kernelILj256ELj4ELj32ELN6hipcub18WarpStoreAlgorithmE3EiEvPT3_.has_indirect_call, 0
	.section	.AMDGPU.csdata,"",@progbits
; Kernel info:
; codeLenInByte = 188
; TotalNumSgprs: 11
; NumVgprs: 9
; ScratchSize: 0
; MemoryBound: 0
; FloatMode: 240
; IeeeMode: 1
; LDSByteSize: 4096 bytes/workgroup (compile time only)
; SGPRBlocks: 1
; VGPRBlocks: 2
; NumSGPRsForWavesPerEU: 11
; NumVGPRsForWavesPerEU: 9
; Occupancy: 10
; WaveLimiterHint : 1
; COMPUTE_PGM_RSRC2:SCRATCH_EN: 0
; COMPUTE_PGM_RSRC2:USER_SGPR: 6
; COMPUTE_PGM_RSRC2:TRAP_HANDLER: 0
; COMPUTE_PGM_RSRC2:TGID_X_EN: 1
; COMPUTE_PGM_RSRC2:TGID_Y_EN: 0
; COMPUTE_PGM_RSRC2:TGID_Z_EN: 0
; COMPUTE_PGM_RSRC2:TIDIG_COMP_CNT: 0
	.section	.text._Z17warp_store_kernelILj256ELj8ELj32ELN6hipcub18WarpStoreAlgorithmE0EiEvPT3_,"axG",@progbits,_Z17warp_store_kernelILj256ELj8ELj32ELN6hipcub18WarpStoreAlgorithmE0EiEvPT3_,comdat
	.protected	_Z17warp_store_kernelILj256ELj8ELj32ELN6hipcub18WarpStoreAlgorithmE0EiEvPT3_ ; -- Begin function _Z17warp_store_kernelILj256ELj8ELj32ELN6hipcub18WarpStoreAlgorithmE0EiEvPT3_
	.globl	_Z17warp_store_kernelILj256ELj8ELj32ELN6hipcub18WarpStoreAlgorithmE0EiEvPT3_
	.p2align	8
	.type	_Z17warp_store_kernelILj256ELj8ELj32ELN6hipcub18WarpStoreAlgorithmE0EiEvPT3_,@function
_Z17warp_store_kernelILj256ELj8ELj32ELN6hipcub18WarpStoreAlgorithmE0EiEvPT3_: ; @_Z17warp_store_kernelILj256ELj8ELj32ELN6hipcub18WarpStoreAlgorithmE0EiEvPT3_
; %bb.0:
	s_load_dwordx2 s[0:1], s[4:5], 0x0
	v_lshlrev_b32_e32 v0, 3, v0
	v_and_b32_e32 v0, 0x700, v0
	v_mbcnt_lo_u32_b32 v1, -1, 0
	v_lshl_or_b32 v3, s6, 11, v0
	v_mov_b32_e32 v4, 0
	v_mbcnt_hi_u32_b32 v2, -1, v1
	v_lshlrev_b64 v[0:1], 2, v[3:4]
	s_waitcnt lgkmcnt(0)
	v_mov_b32_e32 v3, s1
	v_add_co_u32_e32 v0, vcc, s0, v0
	v_lshlrev_b32_e32 v2, 5, v2
	v_addc_co_u32_e32 v1, vcc, v3, v1, vcc
	v_and_b32_e32 v2, 0x3e0, v2
	v_add_co_u32_e32 v5, vcc, v0, v2
	v_addc_co_u32_e32 v6, vcc, 0, v1, vcc
	v_mov_b32_e32 v1, 1
	v_mov_b32_e32 v2, 2
	;; [unrolled: 1-line block ×4, first 2 shown]
	global_store_dwordx4 v[5:6], v[0:3], off
	s_nop 0
	v_mov_b32_e32 v0, 4
	v_mov_b32_e32 v1, 5
	;; [unrolled: 1-line block ×4, first 2 shown]
	global_store_dwordx4 v[5:6], v[0:3], off offset:16
	s_endpgm
	.section	.rodata,"a",@progbits
	.p2align	6, 0x0
	.amdhsa_kernel _Z17warp_store_kernelILj256ELj8ELj32ELN6hipcub18WarpStoreAlgorithmE0EiEvPT3_
		.amdhsa_group_segment_fixed_size 0
		.amdhsa_private_segment_fixed_size 0
		.amdhsa_kernarg_size 8
		.amdhsa_user_sgpr_count 6
		.amdhsa_user_sgpr_private_segment_buffer 1
		.amdhsa_user_sgpr_dispatch_ptr 0
		.amdhsa_user_sgpr_queue_ptr 0
		.amdhsa_user_sgpr_kernarg_segment_ptr 1
		.amdhsa_user_sgpr_dispatch_id 0
		.amdhsa_user_sgpr_flat_scratch_init 0
		.amdhsa_user_sgpr_private_segment_size 0
		.amdhsa_uses_dynamic_stack 0
		.amdhsa_system_sgpr_private_segment_wavefront_offset 0
		.amdhsa_system_sgpr_workgroup_id_x 1
		.amdhsa_system_sgpr_workgroup_id_y 0
		.amdhsa_system_sgpr_workgroup_id_z 0
		.amdhsa_system_sgpr_workgroup_info 0
		.amdhsa_system_vgpr_workitem_id 0
		.amdhsa_next_free_vgpr 7
		.amdhsa_next_free_sgpr 7
		.amdhsa_reserve_vcc 1
		.amdhsa_reserve_flat_scratch 0
		.amdhsa_float_round_mode_32 0
		.amdhsa_float_round_mode_16_64 0
		.amdhsa_float_denorm_mode_32 3
		.amdhsa_float_denorm_mode_16_64 3
		.amdhsa_dx10_clamp 1
		.amdhsa_ieee_mode 1
		.amdhsa_fp16_overflow 0
		.amdhsa_exception_fp_ieee_invalid_op 0
		.amdhsa_exception_fp_denorm_src 0
		.amdhsa_exception_fp_ieee_div_zero 0
		.amdhsa_exception_fp_ieee_overflow 0
		.amdhsa_exception_fp_ieee_underflow 0
		.amdhsa_exception_fp_ieee_inexact 0
		.amdhsa_exception_int_div_zero 0
	.end_amdhsa_kernel
	.section	.text._Z17warp_store_kernelILj256ELj8ELj32ELN6hipcub18WarpStoreAlgorithmE0EiEvPT3_,"axG",@progbits,_Z17warp_store_kernelILj256ELj8ELj32ELN6hipcub18WarpStoreAlgorithmE0EiEvPT3_,comdat
.Lfunc_end4:
	.size	_Z17warp_store_kernelILj256ELj8ELj32ELN6hipcub18WarpStoreAlgorithmE0EiEvPT3_, .Lfunc_end4-_Z17warp_store_kernelILj256ELj8ELj32ELN6hipcub18WarpStoreAlgorithmE0EiEvPT3_
                                        ; -- End function
	.set _Z17warp_store_kernelILj256ELj8ELj32ELN6hipcub18WarpStoreAlgorithmE0EiEvPT3_.num_vgpr, 7
	.set _Z17warp_store_kernelILj256ELj8ELj32ELN6hipcub18WarpStoreAlgorithmE0EiEvPT3_.num_agpr, 0
	.set _Z17warp_store_kernelILj256ELj8ELj32ELN6hipcub18WarpStoreAlgorithmE0EiEvPT3_.numbered_sgpr, 7
	.set _Z17warp_store_kernelILj256ELj8ELj32ELN6hipcub18WarpStoreAlgorithmE0EiEvPT3_.num_named_barrier, 0
	.set _Z17warp_store_kernelILj256ELj8ELj32ELN6hipcub18WarpStoreAlgorithmE0EiEvPT3_.private_seg_size, 0
	.set _Z17warp_store_kernelILj256ELj8ELj32ELN6hipcub18WarpStoreAlgorithmE0EiEvPT3_.uses_vcc, 1
	.set _Z17warp_store_kernelILj256ELj8ELj32ELN6hipcub18WarpStoreAlgorithmE0EiEvPT3_.uses_flat_scratch, 0
	.set _Z17warp_store_kernelILj256ELj8ELj32ELN6hipcub18WarpStoreAlgorithmE0EiEvPT3_.has_dyn_sized_stack, 0
	.set _Z17warp_store_kernelILj256ELj8ELj32ELN6hipcub18WarpStoreAlgorithmE0EiEvPT3_.has_recursion, 0
	.set _Z17warp_store_kernelILj256ELj8ELj32ELN6hipcub18WarpStoreAlgorithmE0EiEvPT3_.has_indirect_call, 0
	.section	.AMDGPU.csdata,"",@progbits
; Kernel info:
; codeLenInByte = 148
; TotalNumSgprs: 11
; NumVgprs: 7
; ScratchSize: 0
; MemoryBound: 0
; FloatMode: 240
; IeeeMode: 1
; LDSByteSize: 0 bytes/workgroup (compile time only)
; SGPRBlocks: 1
; VGPRBlocks: 1
; NumSGPRsForWavesPerEU: 11
; NumVGPRsForWavesPerEU: 7
; Occupancy: 10
; WaveLimiterHint : 0
; COMPUTE_PGM_RSRC2:SCRATCH_EN: 0
; COMPUTE_PGM_RSRC2:USER_SGPR: 6
; COMPUTE_PGM_RSRC2:TRAP_HANDLER: 0
; COMPUTE_PGM_RSRC2:TGID_X_EN: 1
; COMPUTE_PGM_RSRC2:TGID_Y_EN: 0
; COMPUTE_PGM_RSRC2:TGID_Z_EN: 0
; COMPUTE_PGM_RSRC2:TIDIG_COMP_CNT: 0
	.section	.text._Z17warp_store_kernelILj256ELj8ELj32ELN6hipcub18WarpStoreAlgorithmE1EiEvPT3_,"axG",@progbits,_Z17warp_store_kernelILj256ELj8ELj32ELN6hipcub18WarpStoreAlgorithmE1EiEvPT3_,comdat
	.protected	_Z17warp_store_kernelILj256ELj8ELj32ELN6hipcub18WarpStoreAlgorithmE1EiEvPT3_ ; -- Begin function _Z17warp_store_kernelILj256ELj8ELj32ELN6hipcub18WarpStoreAlgorithmE1EiEvPT3_
	.globl	_Z17warp_store_kernelILj256ELj8ELj32ELN6hipcub18WarpStoreAlgorithmE1EiEvPT3_
	.p2align	8
	.type	_Z17warp_store_kernelILj256ELj8ELj32ELN6hipcub18WarpStoreAlgorithmE1EiEvPT3_,@function
_Z17warp_store_kernelILj256ELj8ELj32ELN6hipcub18WarpStoreAlgorithmE1EiEvPT3_: ; @_Z17warp_store_kernelILj256ELj8ELj32ELN6hipcub18WarpStoreAlgorithmE1EiEvPT3_
; %bb.0:
	s_load_dwordx2 s[0:1], s[4:5], 0x0
	v_lshlrev_b32_e32 v0, 3, v0
	v_mbcnt_lo_u32_b32 v2, -1, 0
	v_and_b32_e32 v0, 0x700, v0
	v_mov_b32_e32 v1, 0
	v_mbcnt_hi_u32_b32 v2, -1, v2
	v_lshl_or_b32 v0, s6, 11, v0
	v_and_b32_e32 v4, 31, v2
	v_lshlrev_b64 v[2:3], 2, v[0:1]
	s_waitcnt lgkmcnt(0)
	v_mov_b32_e32 v0, s1
	v_add_co_u32_e32 v2, vcc, s0, v2
	v_addc_co_u32_e32 v0, vcc, v0, v3, vcc
	v_lshlrev_b32_e32 v3, 2, v4
	v_add_co_u32_e32 v2, vcc, v2, v3
	v_addc_co_u32_e32 v3, vcc, 0, v0, vcc
	v_mov_b32_e32 v0, 1
	v_mov_b32_e32 v5, 3
	;; [unrolled: 1-line block ×3, first 2 shown]
	global_store_dword v[2:3], v1, off
	global_store_dword v[2:3], v0, off offset:128
	global_store_dword v[2:3], v6, off offset:256
	;; [unrolled: 1-line block ×3, first 2 shown]
	v_mov_b32_e32 v0, 4
	global_store_dword v[2:3], v0, off offset:512
	v_mov_b32_e32 v0, 5
	global_store_dword v[2:3], v0, off offset:640
	;; [unrolled: 2-line block ×4, first 2 shown]
	s_endpgm
	.section	.rodata,"a",@progbits
	.p2align	6, 0x0
	.amdhsa_kernel _Z17warp_store_kernelILj256ELj8ELj32ELN6hipcub18WarpStoreAlgorithmE1EiEvPT3_
		.amdhsa_group_segment_fixed_size 0
		.amdhsa_private_segment_fixed_size 0
		.amdhsa_kernarg_size 8
		.amdhsa_user_sgpr_count 6
		.amdhsa_user_sgpr_private_segment_buffer 1
		.amdhsa_user_sgpr_dispatch_ptr 0
		.amdhsa_user_sgpr_queue_ptr 0
		.amdhsa_user_sgpr_kernarg_segment_ptr 1
		.amdhsa_user_sgpr_dispatch_id 0
		.amdhsa_user_sgpr_flat_scratch_init 0
		.amdhsa_user_sgpr_private_segment_size 0
		.amdhsa_uses_dynamic_stack 0
		.amdhsa_system_sgpr_private_segment_wavefront_offset 0
		.amdhsa_system_sgpr_workgroup_id_x 1
		.amdhsa_system_sgpr_workgroup_id_y 0
		.amdhsa_system_sgpr_workgroup_id_z 0
		.amdhsa_system_sgpr_workgroup_info 0
		.amdhsa_system_vgpr_workitem_id 0
		.amdhsa_next_free_vgpr 7
		.amdhsa_next_free_sgpr 7
		.amdhsa_reserve_vcc 1
		.amdhsa_reserve_flat_scratch 0
		.amdhsa_float_round_mode_32 0
		.amdhsa_float_round_mode_16_64 0
		.amdhsa_float_denorm_mode_32 3
		.amdhsa_float_denorm_mode_16_64 3
		.amdhsa_dx10_clamp 1
		.amdhsa_ieee_mode 1
		.amdhsa_fp16_overflow 0
		.amdhsa_exception_fp_ieee_invalid_op 0
		.amdhsa_exception_fp_denorm_src 0
		.amdhsa_exception_fp_ieee_div_zero 0
		.amdhsa_exception_fp_ieee_overflow 0
		.amdhsa_exception_fp_ieee_underflow 0
		.amdhsa_exception_fp_ieee_inexact 0
		.amdhsa_exception_int_div_zero 0
	.end_amdhsa_kernel
	.section	.text._Z17warp_store_kernelILj256ELj8ELj32ELN6hipcub18WarpStoreAlgorithmE1EiEvPT3_,"axG",@progbits,_Z17warp_store_kernelILj256ELj8ELj32ELN6hipcub18WarpStoreAlgorithmE1EiEvPT3_,comdat
.Lfunc_end5:
	.size	_Z17warp_store_kernelILj256ELj8ELj32ELN6hipcub18WarpStoreAlgorithmE1EiEvPT3_, .Lfunc_end5-_Z17warp_store_kernelILj256ELj8ELj32ELN6hipcub18WarpStoreAlgorithmE1EiEvPT3_
                                        ; -- End function
	.set _Z17warp_store_kernelILj256ELj8ELj32ELN6hipcub18WarpStoreAlgorithmE1EiEvPT3_.num_vgpr, 7
	.set _Z17warp_store_kernelILj256ELj8ELj32ELN6hipcub18WarpStoreAlgorithmE1EiEvPT3_.num_agpr, 0
	.set _Z17warp_store_kernelILj256ELj8ELj32ELN6hipcub18WarpStoreAlgorithmE1EiEvPT3_.numbered_sgpr, 7
	.set _Z17warp_store_kernelILj256ELj8ELj32ELN6hipcub18WarpStoreAlgorithmE1EiEvPT3_.num_named_barrier, 0
	.set _Z17warp_store_kernelILj256ELj8ELj32ELN6hipcub18WarpStoreAlgorithmE1EiEvPT3_.private_seg_size, 0
	.set _Z17warp_store_kernelILj256ELj8ELj32ELN6hipcub18WarpStoreAlgorithmE1EiEvPT3_.uses_vcc, 1
	.set _Z17warp_store_kernelILj256ELj8ELj32ELN6hipcub18WarpStoreAlgorithmE1EiEvPT3_.uses_flat_scratch, 0
	.set _Z17warp_store_kernelILj256ELj8ELj32ELN6hipcub18WarpStoreAlgorithmE1EiEvPT3_.has_dyn_sized_stack, 0
	.set _Z17warp_store_kernelILj256ELj8ELj32ELN6hipcub18WarpStoreAlgorithmE1EiEvPT3_.has_recursion, 0
	.set _Z17warp_store_kernelILj256ELj8ELj32ELN6hipcub18WarpStoreAlgorithmE1EiEvPT3_.has_indirect_call, 0
	.section	.AMDGPU.csdata,"",@progbits
; Kernel info:
; codeLenInByte = 184
; TotalNumSgprs: 11
; NumVgprs: 7
; ScratchSize: 0
; MemoryBound: 0
; FloatMode: 240
; IeeeMode: 1
; LDSByteSize: 0 bytes/workgroup (compile time only)
; SGPRBlocks: 1
; VGPRBlocks: 1
; NumSGPRsForWavesPerEU: 11
; NumVGPRsForWavesPerEU: 7
; Occupancy: 10
; WaveLimiterHint : 1
; COMPUTE_PGM_RSRC2:SCRATCH_EN: 0
; COMPUTE_PGM_RSRC2:USER_SGPR: 6
; COMPUTE_PGM_RSRC2:TRAP_HANDLER: 0
; COMPUTE_PGM_RSRC2:TGID_X_EN: 1
; COMPUTE_PGM_RSRC2:TGID_Y_EN: 0
; COMPUTE_PGM_RSRC2:TGID_Z_EN: 0
; COMPUTE_PGM_RSRC2:TIDIG_COMP_CNT: 0
	.section	.text._Z17warp_store_kernelILj256ELj8ELj32ELN6hipcub18WarpStoreAlgorithmE2EiEvPT3_,"axG",@progbits,_Z17warp_store_kernelILj256ELj8ELj32ELN6hipcub18WarpStoreAlgorithmE2EiEvPT3_,comdat
	.protected	_Z17warp_store_kernelILj256ELj8ELj32ELN6hipcub18WarpStoreAlgorithmE2EiEvPT3_ ; -- Begin function _Z17warp_store_kernelILj256ELj8ELj32ELN6hipcub18WarpStoreAlgorithmE2EiEvPT3_
	.globl	_Z17warp_store_kernelILj256ELj8ELj32ELN6hipcub18WarpStoreAlgorithmE2EiEvPT3_
	.p2align	8
	.type	_Z17warp_store_kernelILj256ELj8ELj32ELN6hipcub18WarpStoreAlgorithmE2EiEvPT3_,@function
_Z17warp_store_kernelILj256ELj8ELj32ELN6hipcub18WarpStoreAlgorithmE2EiEvPT3_: ; @_Z17warp_store_kernelILj256ELj8ELj32ELN6hipcub18WarpStoreAlgorithmE2EiEvPT3_
; %bb.0:
	s_load_dwordx2 s[0:1], s[4:5], 0x0
	v_lshlrev_b32_e32 v0, 3, v0
	v_and_b32_e32 v0, 0x700, v0
	v_mbcnt_lo_u32_b32 v1, -1, 0
	v_lshl_or_b32 v3, s6, 11, v0
	v_mov_b32_e32 v4, 0
	v_mbcnt_hi_u32_b32 v2, -1, v1
	v_lshlrev_b64 v[0:1], 2, v[3:4]
	s_waitcnt lgkmcnt(0)
	v_mov_b32_e32 v3, s1
	v_add_co_u32_e32 v0, vcc, s0, v0
	v_lshlrev_b32_e32 v2, 5, v2
	v_addc_co_u32_e32 v1, vcc, v3, v1, vcc
	v_and_b32_e32 v2, 0x3e0, v2
	v_add_co_u32_e32 v5, vcc, v0, v2
	v_addc_co_u32_e32 v6, vcc, 0, v1, vcc
	v_mov_b32_e32 v1, 1
	v_mov_b32_e32 v2, 2
	;; [unrolled: 1-line block ×4, first 2 shown]
	global_store_dwordx4 v[5:6], v[0:3], off
	s_nop 0
	v_mov_b32_e32 v0, 4
	v_mov_b32_e32 v1, 5
	;; [unrolled: 1-line block ×4, first 2 shown]
	global_store_dwordx4 v[5:6], v[0:3], off offset:16
	s_endpgm
	.section	.rodata,"a",@progbits
	.p2align	6, 0x0
	.amdhsa_kernel _Z17warp_store_kernelILj256ELj8ELj32ELN6hipcub18WarpStoreAlgorithmE2EiEvPT3_
		.amdhsa_group_segment_fixed_size 0
		.amdhsa_private_segment_fixed_size 0
		.amdhsa_kernarg_size 8
		.amdhsa_user_sgpr_count 6
		.amdhsa_user_sgpr_private_segment_buffer 1
		.amdhsa_user_sgpr_dispatch_ptr 0
		.amdhsa_user_sgpr_queue_ptr 0
		.amdhsa_user_sgpr_kernarg_segment_ptr 1
		.amdhsa_user_sgpr_dispatch_id 0
		.amdhsa_user_sgpr_flat_scratch_init 0
		.amdhsa_user_sgpr_private_segment_size 0
		.amdhsa_uses_dynamic_stack 0
		.amdhsa_system_sgpr_private_segment_wavefront_offset 0
		.amdhsa_system_sgpr_workgroup_id_x 1
		.amdhsa_system_sgpr_workgroup_id_y 0
		.amdhsa_system_sgpr_workgroup_id_z 0
		.amdhsa_system_sgpr_workgroup_info 0
		.amdhsa_system_vgpr_workitem_id 0
		.amdhsa_next_free_vgpr 7
		.amdhsa_next_free_sgpr 7
		.amdhsa_reserve_vcc 1
		.amdhsa_reserve_flat_scratch 0
		.amdhsa_float_round_mode_32 0
		.amdhsa_float_round_mode_16_64 0
		.amdhsa_float_denorm_mode_32 3
		.amdhsa_float_denorm_mode_16_64 3
		.amdhsa_dx10_clamp 1
		.amdhsa_ieee_mode 1
		.amdhsa_fp16_overflow 0
		.amdhsa_exception_fp_ieee_invalid_op 0
		.amdhsa_exception_fp_denorm_src 0
		.amdhsa_exception_fp_ieee_div_zero 0
		.amdhsa_exception_fp_ieee_overflow 0
		.amdhsa_exception_fp_ieee_underflow 0
		.amdhsa_exception_fp_ieee_inexact 0
		.amdhsa_exception_int_div_zero 0
	.end_amdhsa_kernel
	.section	.text._Z17warp_store_kernelILj256ELj8ELj32ELN6hipcub18WarpStoreAlgorithmE2EiEvPT3_,"axG",@progbits,_Z17warp_store_kernelILj256ELj8ELj32ELN6hipcub18WarpStoreAlgorithmE2EiEvPT3_,comdat
.Lfunc_end6:
	.size	_Z17warp_store_kernelILj256ELj8ELj32ELN6hipcub18WarpStoreAlgorithmE2EiEvPT3_, .Lfunc_end6-_Z17warp_store_kernelILj256ELj8ELj32ELN6hipcub18WarpStoreAlgorithmE2EiEvPT3_
                                        ; -- End function
	.set _Z17warp_store_kernelILj256ELj8ELj32ELN6hipcub18WarpStoreAlgorithmE2EiEvPT3_.num_vgpr, 7
	.set _Z17warp_store_kernelILj256ELj8ELj32ELN6hipcub18WarpStoreAlgorithmE2EiEvPT3_.num_agpr, 0
	.set _Z17warp_store_kernelILj256ELj8ELj32ELN6hipcub18WarpStoreAlgorithmE2EiEvPT3_.numbered_sgpr, 7
	.set _Z17warp_store_kernelILj256ELj8ELj32ELN6hipcub18WarpStoreAlgorithmE2EiEvPT3_.num_named_barrier, 0
	.set _Z17warp_store_kernelILj256ELj8ELj32ELN6hipcub18WarpStoreAlgorithmE2EiEvPT3_.private_seg_size, 0
	.set _Z17warp_store_kernelILj256ELj8ELj32ELN6hipcub18WarpStoreAlgorithmE2EiEvPT3_.uses_vcc, 1
	.set _Z17warp_store_kernelILj256ELj8ELj32ELN6hipcub18WarpStoreAlgorithmE2EiEvPT3_.uses_flat_scratch, 0
	.set _Z17warp_store_kernelILj256ELj8ELj32ELN6hipcub18WarpStoreAlgorithmE2EiEvPT3_.has_dyn_sized_stack, 0
	.set _Z17warp_store_kernelILj256ELj8ELj32ELN6hipcub18WarpStoreAlgorithmE2EiEvPT3_.has_recursion, 0
	.set _Z17warp_store_kernelILj256ELj8ELj32ELN6hipcub18WarpStoreAlgorithmE2EiEvPT3_.has_indirect_call, 0
	.section	.AMDGPU.csdata,"",@progbits
; Kernel info:
; codeLenInByte = 148
; TotalNumSgprs: 11
; NumVgprs: 7
; ScratchSize: 0
; MemoryBound: 0
; FloatMode: 240
; IeeeMode: 1
; LDSByteSize: 0 bytes/workgroup (compile time only)
; SGPRBlocks: 1
; VGPRBlocks: 1
; NumSGPRsForWavesPerEU: 11
; NumVGPRsForWavesPerEU: 7
; Occupancy: 10
; WaveLimiterHint : 0
; COMPUTE_PGM_RSRC2:SCRATCH_EN: 0
; COMPUTE_PGM_RSRC2:USER_SGPR: 6
; COMPUTE_PGM_RSRC2:TRAP_HANDLER: 0
; COMPUTE_PGM_RSRC2:TGID_X_EN: 1
; COMPUTE_PGM_RSRC2:TGID_Y_EN: 0
; COMPUTE_PGM_RSRC2:TGID_Z_EN: 0
; COMPUTE_PGM_RSRC2:TIDIG_COMP_CNT: 0
	.section	.text._Z17warp_store_kernelILj256ELj8ELj32ELN6hipcub18WarpStoreAlgorithmE3EiEvPT3_,"axG",@progbits,_Z17warp_store_kernelILj256ELj8ELj32ELN6hipcub18WarpStoreAlgorithmE3EiEvPT3_,comdat
	.protected	_Z17warp_store_kernelILj256ELj8ELj32ELN6hipcub18WarpStoreAlgorithmE3EiEvPT3_ ; -- Begin function _Z17warp_store_kernelILj256ELj8ELj32ELN6hipcub18WarpStoreAlgorithmE3EiEvPT3_
	.globl	_Z17warp_store_kernelILj256ELj8ELj32ELN6hipcub18WarpStoreAlgorithmE3EiEvPT3_
	.p2align	8
	.type	_Z17warp_store_kernelILj256ELj8ELj32ELN6hipcub18WarpStoreAlgorithmE3EiEvPT3_,@function
_Z17warp_store_kernelILj256ELj8ELj32ELN6hipcub18WarpStoreAlgorithmE3EiEvPT3_: ; @_Z17warp_store_kernelILj256ELj8ELj32ELN6hipcub18WarpStoreAlgorithmE3EiEvPT3_
; %bb.0:
	s_load_dwordx2 s[0:1], s[4:5], 0x0
	v_lshrrev_b32_e32 v2, 5, v0
	v_mbcnt_lo_u32_b32 v0, -1, 0
	s_lshl_b32 s2, s6, 11
	v_mbcnt_hi_u32_b32 v0, -1, v0
	v_lshl_or_b32 v3, v2, 8, s2
	v_mov_b32_e32 v4, 0
	v_and_b32_e32 v8, 31, v0
	v_lshlrev_b64 v[0:1], 2, v[3:4]
	s_waitcnt lgkmcnt(0)
	v_mov_b32_e32 v3, s1
	v_add_co_u32_e32 v9, vcc, s0, v0
	v_lshlrev_b32_e32 v0, 5, v8
	v_addc_co_u32_e32 v10, vcc, v3, v1, vcc
	v_lshl_or_b32 v5, v2, 10, v0
	v_mov_b32_e32 v1, 1
	v_mov_b32_e32 v2, 2
	v_mov_b32_e32 v3, 3
	v_mov_b32_e32 v0, v4
	s_movk_i32 s0, 0xffe4
	ds_write_b128 v5, v[0:3]
	v_mov_b32_e32 v0, 4
	v_mov_b32_e32 v1, 5
	;; [unrolled: 1-line block ×4, first 2 shown]
	v_mad_i32_i24 v6, v8, s0, v5
	ds_write_b128 v5, v[0:3] offset:16
	; wave barrier
	ds_read2_b32 v[0:1], v6 offset1:32
	ds_read2_b32 v[2:3], v6 offset0:64 offset1:96
	ds_read2_b32 v[4:5], v6 offset0:128 offset1:160
	;; [unrolled: 1-line block ×3, first 2 shown]
	v_lshlrev_b32_e32 v8, 2, v8
	v_add_co_u32_e32 v8, vcc, v9, v8
	v_addc_co_u32_e32 v9, vcc, 0, v10, vcc
	s_waitcnt lgkmcnt(3)
	global_store_dword v[8:9], v0, off
	global_store_dword v[8:9], v1, off offset:128
	s_waitcnt lgkmcnt(2)
	global_store_dword v[8:9], v2, off offset:256
	global_store_dword v[8:9], v3, off offset:384
	s_waitcnt lgkmcnt(1)
	global_store_dword v[8:9], v4, off offset:512
	;; [unrolled: 3-line block ×3, first 2 shown]
	global_store_dword v[8:9], v7, off offset:896
	s_endpgm
	.section	.rodata,"a",@progbits
	.p2align	6, 0x0
	.amdhsa_kernel _Z17warp_store_kernelILj256ELj8ELj32ELN6hipcub18WarpStoreAlgorithmE3EiEvPT3_
		.amdhsa_group_segment_fixed_size 8192
		.amdhsa_private_segment_fixed_size 0
		.amdhsa_kernarg_size 8
		.amdhsa_user_sgpr_count 6
		.amdhsa_user_sgpr_private_segment_buffer 1
		.amdhsa_user_sgpr_dispatch_ptr 0
		.amdhsa_user_sgpr_queue_ptr 0
		.amdhsa_user_sgpr_kernarg_segment_ptr 1
		.amdhsa_user_sgpr_dispatch_id 0
		.amdhsa_user_sgpr_flat_scratch_init 0
		.amdhsa_user_sgpr_private_segment_size 0
		.amdhsa_uses_dynamic_stack 0
		.amdhsa_system_sgpr_private_segment_wavefront_offset 0
		.amdhsa_system_sgpr_workgroup_id_x 1
		.amdhsa_system_sgpr_workgroup_id_y 0
		.amdhsa_system_sgpr_workgroup_id_z 0
		.amdhsa_system_sgpr_workgroup_info 0
		.amdhsa_system_vgpr_workitem_id 0
		.amdhsa_next_free_vgpr 29
		.amdhsa_next_free_sgpr 61
		.amdhsa_reserve_vcc 1
		.amdhsa_reserve_flat_scratch 0
		.amdhsa_float_round_mode_32 0
		.amdhsa_float_round_mode_16_64 0
		.amdhsa_float_denorm_mode_32 3
		.amdhsa_float_denorm_mode_16_64 3
		.amdhsa_dx10_clamp 1
		.amdhsa_ieee_mode 1
		.amdhsa_fp16_overflow 0
		.amdhsa_exception_fp_ieee_invalid_op 0
		.amdhsa_exception_fp_denorm_src 0
		.amdhsa_exception_fp_ieee_div_zero 0
		.amdhsa_exception_fp_ieee_overflow 0
		.amdhsa_exception_fp_ieee_underflow 0
		.amdhsa_exception_fp_ieee_inexact 0
		.amdhsa_exception_int_div_zero 0
	.end_amdhsa_kernel
	.section	.text._Z17warp_store_kernelILj256ELj8ELj32ELN6hipcub18WarpStoreAlgorithmE3EiEvPT3_,"axG",@progbits,_Z17warp_store_kernelILj256ELj8ELj32ELN6hipcub18WarpStoreAlgorithmE3EiEvPT3_,comdat
.Lfunc_end7:
	.size	_Z17warp_store_kernelILj256ELj8ELj32ELN6hipcub18WarpStoreAlgorithmE3EiEvPT3_, .Lfunc_end7-_Z17warp_store_kernelILj256ELj8ELj32ELN6hipcub18WarpStoreAlgorithmE3EiEvPT3_
                                        ; -- End function
	.set _Z17warp_store_kernelILj256ELj8ELj32ELN6hipcub18WarpStoreAlgorithmE3EiEvPT3_.num_vgpr, 11
	.set _Z17warp_store_kernelILj256ELj8ELj32ELN6hipcub18WarpStoreAlgorithmE3EiEvPT3_.num_agpr, 0
	.set _Z17warp_store_kernelILj256ELj8ELj32ELN6hipcub18WarpStoreAlgorithmE3EiEvPT3_.numbered_sgpr, 7
	.set _Z17warp_store_kernelILj256ELj8ELj32ELN6hipcub18WarpStoreAlgorithmE3EiEvPT3_.num_named_barrier, 0
	.set _Z17warp_store_kernelILj256ELj8ELj32ELN6hipcub18WarpStoreAlgorithmE3EiEvPT3_.private_seg_size, 0
	.set _Z17warp_store_kernelILj256ELj8ELj32ELN6hipcub18WarpStoreAlgorithmE3EiEvPT3_.uses_vcc, 1
	.set _Z17warp_store_kernelILj256ELj8ELj32ELN6hipcub18WarpStoreAlgorithmE3EiEvPT3_.uses_flat_scratch, 0
	.set _Z17warp_store_kernelILj256ELj8ELj32ELN6hipcub18WarpStoreAlgorithmE3EiEvPT3_.has_dyn_sized_stack, 0
	.set _Z17warp_store_kernelILj256ELj8ELj32ELN6hipcub18WarpStoreAlgorithmE3EiEvPT3_.has_recursion, 0
	.set _Z17warp_store_kernelILj256ELj8ELj32ELN6hipcub18WarpStoreAlgorithmE3EiEvPT3_.has_indirect_call, 0
	.section	.AMDGPU.csdata,"",@progbits
; Kernel info:
; codeLenInByte = 272
; TotalNumSgprs: 11
; NumVgprs: 11
; ScratchSize: 0
; MemoryBound: 1
; FloatMode: 240
; IeeeMode: 1
; LDSByteSize: 8192 bytes/workgroup (compile time only)
; SGPRBlocks: 8
; VGPRBlocks: 7
; NumSGPRsForWavesPerEU: 65
; NumVGPRsForWavesPerEU: 29
; Occupancy: 8
; WaveLimiterHint : 1
; COMPUTE_PGM_RSRC2:SCRATCH_EN: 0
; COMPUTE_PGM_RSRC2:USER_SGPR: 6
; COMPUTE_PGM_RSRC2:TRAP_HANDLER: 0
; COMPUTE_PGM_RSRC2:TGID_X_EN: 1
; COMPUTE_PGM_RSRC2:TGID_Y_EN: 0
; COMPUTE_PGM_RSRC2:TGID_Z_EN: 0
; COMPUTE_PGM_RSRC2:TIDIG_COMP_CNT: 0
	.section	.text._Z17warp_store_kernelILj256ELj16ELj32ELN6hipcub18WarpStoreAlgorithmE0EiEvPT3_,"axG",@progbits,_Z17warp_store_kernelILj256ELj16ELj32ELN6hipcub18WarpStoreAlgorithmE0EiEvPT3_,comdat
	.protected	_Z17warp_store_kernelILj256ELj16ELj32ELN6hipcub18WarpStoreAlgorithmE0EiEvPT3_ ; -- Begin function _Z17warp_store_kernelILj256ELj16ELj32ELN6hipcub18WarpStoreAlgorithmE0EiEvPT3_
	.globl	_Z17warp_store_kernelILj256ELj16ELj32ELN6hipcub18WarpStoreAlgorithmE0EiEvPT3_
	.p2align	8
	.type	_Z17warp_store_kernelILj256ELj16ELj32ELN6hipcub18WarpStoreAlgorithmE0EiEvPT3_,@function
_Z17warp_store_kernelILj256ELj16ELj32ELN6hipcub18WarpStoreAlgorithmE0EiEvPT3_: ; @_Z17warp_store_kernelILj256ELj16ELj32ELN6hipcub18WarpStoreAlgorithmE0EiEvPT3_
; %bb.0:
	s_load_dwordx2 s[0:1], s[4:5], 0x0
	v_lshlrev_b32_e32 v0, 4, v0
	v_and_b32_e32 v0, 0xe00, v0
	v_mbcnt_lo_u32_b32 v1, -1, 0
	v_lshl_or_b32 v3, s6, 12, v0
	v_mov_b32_e32 v4, 0
	v_mbcnt_hi_u32_b32 v2, -1, v1
	v_lshlrev_b64 v[0:1], 2, v[3:4]
	s_waitcnt lgkmcnt(0)
	v_mov_b32_e32 v3, s1
	v_add_co_u32_e32 v0, vcc, s0, v0
	v_lshlrev_b32_e32 v2, 6, v2
	v_addc_co_u32_e32 v1, vcc, v3, v1, vcc
	v_and_b32_e32 v2, 0x7c0, v2
	v_add_co_u32_e32 v5, vcc, v0, v2
	v_addc_co_u32_e32 v6, vcc, 0, v1, vcc
	v_mov_b32_e32 v1, 1
	v_mov_b32_e32 v2, 2
	;; [unrolled: 1-line block ×4, first 2 shown]
	global_store_dwordx4 v[5:6], v[0:3], off
	s_nop 0
	v_mov_b32_e32 v0, 4
	v_mov_b32_e32 v1, 5
	v_mov_b32_e32 v2, 6
	v_mov_b32_e32 v3, 7
	global_store_dwordx4 v[5:6], v[0:3], off offset:16
	s_nop 0
	v_mov_b32_e32 v0, 8
	v_mov_b32_e32 v1, 9
	v_mov_b32_e32 v2, 10
	v_mov_b32_e32 v3, 11
	global_store_dwordx4 v[5:6], v[0:3], off offset:32
	;; [unrolled: 6-line block ×3, first 2 shown]
	s_endpgm
	.section	.rodata,"a",@progbits
	.p2align	6, 0x0
	.amdhsa_kernel _Z17warp_store_kernelILj256ELj16ELj32ELN6hipcub18WarpStoreAlgorithmE0EiEvPT3_
		.amdhsa_group_segment_fixed_size 0
		.amdhsa_private_segment_fixed_size 0
		.amdhsa_kernarg_size 8
		.amdhsa_user_sgpr_count 6
		.amdhsa_user_sgpr_private_segment_buffer 1
		.amdhsa_user_sgpr_dispatch_ptr 0
		.amdhsa_user_sgpr_queue_ptr 0
		.amdhsa_user_sgpr_kernarg_segment_ptr 1
		.amdhsa_user_sgpr_dispatch_id 0
		.amdhsa_user_sgpr_flat_scratch_init 0
		.amdhsa_user_sgpr_private_segment_size 0
		.amdhsa_uses_dynamic_stack 0
		.amdhsa_system_sgpr_private_segment_wavefront_offset 0
		.amdhsa_system_sgpr_workgroup_id_x 1
		.amdhsa_system_sgpr_workgroup_id_y 0
		.amdhsa_system_sgpr_workgroup_id_z 0
		.amdhsa_system_sgpr_workgroup_info 0
		.amdhsa_system_vgpr_workitem_id 0
		.amdhsa_next_free_vgpr 7
		.amdhsa_next_free_sgpr 7
		.amdhsa_reserve_vcc 1
		.amdhsa_reserve_flat_scratch 0
		.amdhsa_float_round_mode_32 0
		.amdhsa_float_round_mode_16_64 0
		.amdhsa_float_denorm_mode_32 3
		.amdhsa_float_denorm_mode_16_64 3
		.amdhsa_dx10_clamp 1
		.amdhsa_ieee_mode 1
		.amdhsa_fp16_overflow 0
		.amdhsa_exception_fp_ieee_invalid_op 0
		.amdhsa_exception_fp_denorm_src 0
		.amdhsa_exception_fp_ieee_div_zero 0
		.amdhsa_exception_fp_ieee_overflow 0
		.amdhsa_exception_fp_ieee_underflow 0
		.amdhsa_exception_fp_ieee_inexact 0
		.amdhsa_exception_int_div_zero 0
	.end_amdhsa_kernel
	.section	.text._Z17warp_store_kernelILj256ELj16ELj32ELN6hipcub18WarpStoreAlgorithmE0EiEvPT3_,"axG",@progbits,_Z17warp_store_kernelILj256ELj16ELj32ELN6hipcub18WarpStoreAlgorithmE0EiEvPT3_,comdat
.Lfunc_end8:
	.size	_Z17warp_store_kernelILj256ELj16ELj32ELN6hipcub18WarpStoreAlgorithmE0EiEvPT3_, .Lfunc_end8-_Z17warp_store_kernelILj256ELj16ELj32ELN6hipcub18WarpStoreAlgorithmE0EiEvPT3_
                                        ; -- End function
	.set _Z17warp_store_kernelILj256ELj16ELj32ELN6hipcub18WarpStoreAlgorithmE0EiEvPT3_.num_vgpr, 7
	.set _Z17warp_store_kernelILj256ELj16ELj32ELN6hipcub18WarpStoreAlgorithmE0EiEvPT3_.num_agpr, 0
	.set _Z17warp_store_kernelILj256ELj16ELj32ELN6hipcub18WarpStoreAlgorithmE0EiEvPT3_.numbered_sgpr, 7
	.set _Z17warp_store_kernelILj256ELj16ELj32ELN6hipcub18WarpStoreAlgorithmE0EiEvPT3_.num_named_barrier, 0
	.set _Z17warp_store_kernelILj256ELj16ELj32ELN6hipcub18WarpStoreAlgorithmE0EiEvPT3_.private_seg_size, 0
	.set _Z17warp_store_kernelILj256ELj16ELj32ELN6hipcub18WarpStoreAlgorithmE0EiEvPT3_.uses_vcc, 1
	.set _Z17warp_store_kernelILj256ELj16ELj32ELN6hipcub18WarpStoreAlgorithmE0EiEvPT3_.uses_flat_scratch, 0
	.set _Z17warp_store_kernelILj256ELj16ELj32ELN6hipcub18WarpStoreAlgorithmE0EiEvPT3_.has_dyn_sized_stack, 0
	.set _Z17warp_store_kernelILj256ELj16ELj32ELN6hipcub18WarpStoreAlgorithmE0EiEvPT3_.has_recursion, 0
	.set _Z17warp_store_kernelILj256ELj16ELj32ELN6hipcub18WarpStoreAlgorithmE0EiEvPT3_.has_indirect_call, 0
	.section	.AMDGPU.csdata,"",@progbits
; Kernel info:
; codeLenInByte = 204
; TotalNumSgprs: 11
; NumVgprs: 7
; ScratchSize: 0
; MemoryBound: 1
; FloatMode: 240
; IeeeMode: 1
; LDSByteSize: 0 bytes/workgroup (compile time only)
; SGPRBlocks: 1
; VGPRBlocks: 1
; NumSGPRsForWavesPerEU: 11
; NumVGPRsForWavesPerEU: 7
; Occupancy: 10
; WaveLimiterHint : 1
; COMPUTE_PGM_RSRC2:SCRATCH_EN: 0
; COMPUTE_PGM_RSRC2:USER_SGPR: 6
; COMPUTE_PGM_RSRC2:TRAP_HANDLER: 0
; COMPUTE_PGM_RSRC2:TGID_X_EN: 1
; COMPUTE_PGM_RSRC2:TGID_Y_EN: 0
; COMPUTE_PGM_RSRC2:TGID_Z_EN: 0
; COMPUTE_PGM_RSRC2:TIDIG_COMP_CNT: 0
	.section	.text._Z17warp_store_kernelILj256ELj16ELj32ELN6hipcub18WarpStoreAlgorithmE1EiEvPT3_,"axG",@progbits,_Z17warp_store_kernelILj256ELj16ELj32ELN6hipcub18WarpStoreAlgorithmE1EiEvPT3_,comdat
	.protected	_Z17warp_store_kernelILj256ELj16ELj32ELN6hipcub18WarpStoreAlgorithmE1EiEvPT3_ ; -- Begin function _Z17warp_store_kernelILj256ELj16ELj32ELN6hipcub18WarpStoreAlgorithmE1EiEvPT3_
	.globl	_Z17warp_store_kernelILj256ELj16ELj32ELN6hipcub18WarpStoreAlgorithmE1EiEvPT3_
	.p2align	8
	.type	_Z17warp_store_kernelILj256ELj16ELj32ELN6hipcub18WarpStoreAlgorithmE1EiEvPT3_,@function
_Z17warp_store_kernelILj256ELj16ELj32ELN6hipcub18WarpStoreAlgorithmE1EiEvPT3_: ; @_Z17warp_store_kernelILj256ELj16ELj32ELN6hipcub18WarpStoreAlgorithmE1EiEvPT3_
; %bb.0:
	s_load_dwordx2 s[0:1], s[4:5], 0x0
	v_lshlrev_b32_e32 v0, 4, v0
	v_mbcnt_lo_u32_b32 v2, -1, 0
	v_and_b32_e32 v0, 0xe00, v0
	v_mov_b32_e32 v1, 0
	v_mbcnt_hi_u32_b32 v2, -1, v2
	v_lshl_or_b32 v0, s6, 12, v0
	v_and_b32_e32 v4, 31, v2
	v_lshlrev_b64 v[2:3], 2, v[0:1]
	s_waitcnt lgkmcnt(0)
	v_mov_b32_e32 v0, s1
	v_add_co_u32_e32 v2, vcc, s0, v2
	v_addc_co_u32_e32 v0, vcc, v0, v3, vcc
	v_lshlrev_b32_e32 v3, 2, v4
	v_add_co_u32_e32 v2, vcc, v2, v3
	v_addc_co_u32_e32 v3, vcc, 0, v0, vcc
	v_mov_b32_e32 v0, 1
	v_mov_b32_e32 v7, 2
	global_store_dword v[2:3], v1, off
	global_store_dword v[2:3], v0, off offset:128
	global_store_dword v[2:3], v7, off offset:256
	v_mov_b32_e32 v0, 3
	v_mov_b32_e32 v5, 4
	global_store_dword v[2:3], v0, off offset:384
	global_store_dword v[2:3], v5, off offset:512
	v_mov_b32_e32 v0, 5
	global_store_dword v[2:3], v0, off offset:640
	v_mov_b32_e32 v0, 6
	global_store_dword v[2:3], v0, off offset:768
	v_mov_b32_e32 v0, 7
	global_store_dword v[2:3], v0, off offset:896
	v_mov_b32_e32 v0, 8
	global_store_dword v[2:3], v0, off offset:1024
	v_mov_b32_e32 v0, 9
	global_store_dword v[2:3], v0, off offset:1152
	v_mov_b32_e32 v0, 10
	global_store_dword v[2:3], v0, off offset:1280
	v_mov_b32_e32 v0, 11
	v_mov_b32_e32 v6, 12
	global_store_dword v[2:3], v0, off offset:1408
	global_store_dword v[2:3], v6, off offset:1536
	v_mov_b32_e32 v0, 13
	global_store_dword v[2:3], v0, off offset:1664
	v_mov_b32_e32 v0, 14
	;; [unrolled: 2-line block ×3, first 2 shown]
	global_store_dword v[2:3], v0, off offset:1920
	s_endpgm
	.section	.rodata,"a",@progbits
	.p2align	6, 0x0
	.amdhsa_kernel _Z17warp_store_kernelILj256ELj16ELj32ELN6hipcub18WarpStoreAlgorithmE1EiEvPT3_
		.amdhsa_group_segment_fixed_size 0
		.amdhsa_private_segment_fixed_size 0
		.amdhsa_kernarg_size 8
		.amdhsa_user_sgpr_count 6
		.amdhsa_user_sgpr_private_segment_buffer 1
		.amdhsa_user_sgpr_dispatch_ptr 0
		.amdhsa_user_sgpr_queue_ptr 0
		.amdhsa_user_sgpr_kernarg_segment_ptr 1
		.amdhsa_user_sgpr_dispatch_id 0
		.amdhsa_user_sgpr_flat_scratch_init 0
		.amdhsa_user_sgpr_private_segment_size 0
		.amdhsa_uses_dynamic_stack 0
		.amdhsa_system_sgpr_private_segment_wavefront_offset 0
		.amdhsa_system_sgpr_workgroup_id_x 1
		.amdhsa_system_sgpr_workgroup_id_y 0
		.amdhsa_system_sgpr_workgroup_id_z 0
		.amdhsa_system_sgpr_workgroup_info 0
		.amdhsa_system_vgpr_workitem_id 0
		.amdhsa_next_free_vgpr 8
		.amdhsa_next_free_sgpr 7
		.amdhsa_reserve_vcc 1
		.amdhsa_reserve_flat_scratch 0
		.amdhsa_float_round_mode_32 0
		.amdhsa_float_round_mode_16_64 0
		.amdhsa_float_denorm_mode_32 3
		.amdhsa_float_denorm_mode_16_64 3
		.amdhsa_dx10_clamp 1
		.amdhsa_ieee_mode 1
		.amdhsa_fp16_overflow 0
		.amdhsa_exception_fp_ieee_invalid_op 0
		.amdhsa_exception_fp_denorm_src 0
		.amdhsa_exception_fp_ieee_div_zero 0
		.amdhsa_exception_fp_ieee_overflow 0
		.amdhsa_exception_fp_ieee_underflow 0
		.amdhsa_exception_fp_ieee_inexact 0
		.amdhsa_exception_int_div_zero 0
	.end_amdhsa_kernel
	.section	.text._Z17warp_store_kernelILj256ELj16ELj32ELN6hipcub18WarpStoreAlgorithmE1EiEvPT3_,"axG",@progbits,_Z17warp_store_kernelILj256ELj16ELj32ELN6hipcub18WarpStoreAlgorithmE1EiEvPT3_,comdat
.Lfunc_end9:
	.size	_Z17warp_store_kernelILj256ELj16ELj32ELN6hipcub18WarpStoreAlgorithmE1EiEvPT3_, .Lfunc_end9-_Z17warp_store_kernelILj256ELj16ELj32ELN6hipcub18WarpStoreAlgorithmE1EiEvPT3_
                                        ; -- End function
	.set _Z17warp_store_kernelILj256ELj16ELj32ELN6hipcub18WarpStoreAlgorithmE1EiEvPT3_.num_vgpr, 8
	.set _Z17warp_store_kernelILj256ELj16ELj32ELN6hipcub18WarpStoreAlgorithmE1EiEvPT3_.num_agpr, 0
	.set _Z17warp_store_kernelILj256ELj16ELj32ELN6hipcub18WarpStoreAlgorithmE1EiEvPT3_.numbered_sgpr, 7
	.set _Z17warp_store_kernelILj256ELj16ELj32ELN6hipcub18WarpStoreAlgorithmE1EiEvPT3_.num_named_barrier, 0
	.set _Z17warp_store_kernelILj256ELj16ELj32ELN6hipcub18WarpStoreAlgorithmE1EiEvPT3_.private_seg_size, 0
	.set _Z17warp_store_kernelILj256ELj16ELj32ELN6hipcub18WarpStoreAlgorithmE1EiEvPT3_.uses_vcc, 1
	.set _Z17warp_store_kernelILj256ELj16ELj32ELN6hipcub18WarpStoreAlgorithmE1EiEvPT3_.uses_flat_scratch, 0
	.set _Z17warp_store_kernelILj256ELj16ELj32ELN6hipcub18WarpStoreAlgorithmE1EiEvPT3_.has_dyn_sized_stack, 0
	.set _Z17warp_store_kernelILj256ELj16ELj32ELN6hipcub18WarpStoreAlgorithmE1EiEvPT3_.has_recursion, 0
	.set _Z17warp_store_kernelILj256ELj16ELj32ELN6hipcub18WarpStoreAlgorithmE1EiEvPT3_.has_indirect_call, 0
	.section	.AMDGPU.csdata,"",@progbits
; Kernel info:
; codeLenInByte = 280
; TotalNumSgprs: 11
; NumVgprs: 8
; ScratchSize: 0
; MemoryBound: 1
; FloatMode: 240
; IeeeMode: 1
; LDSByteSize: 0 bytes/workgroup (compile time only)
; SGPRBlocks: 1
; VGPRBlocks: 1
; NumSGPRsForWavesPerEU: 11
; NumVGPRsForWavesPerEU: 8
; Occupancy: 10
; WaveLimiterHint : 1
; COMPUTE_PGM_RSRC2:SCRATCH_EN: 0
; COMPUTE_PGM_RSRC2:USER_SGPR: 6
; COMPUTE_PGM_RSRC2:TRAP_HANDLER: 0
; COMPUTE_PGM_RSRC2:TGID_X_EN: 1
; COMPUTE_PGM_RSRC2:TGID_Y_EN: 0
; COMPUTE_PGM_RSRC2:TGID_Z_EN: 0
; COMPUTE_PGM_RSRC2:TIDIG_COMP_CNT: 0
	.section	.text._Z17warp_store_kernelILj256ELj16ELj32ELN6hipcub18WarpStoreAlgorithmE2EiEvPT3_,"axG",@progbits,_Z17warp_store_kernelILj256ELj16ELj32ELN6hipcub18WarpStoreAlgorithmE2EiEvPT3_,comdat
	.protected	_Z17warp_store_kernelILj256ELj16ELj32ELN6hipcub18WarpStoreAlgorithmE2EiEvPT3_ ; -- Begin function _Z17warp_store_kernelILj256ELj16ELj32ELN6hipcub18WarpStoreAlgorithmE2EiEvPT3_
	.globl	_Z17warp_store_kernelILj256ELj16ELj32ELN6hipcub18WarpStoreAlgorithmE2EiEvPT3_
	.p2align	8
	.type	_Z17warp_store_kernelILj256ELj16ELj32ELN6hipcub18WarpStoreAlgorithmE2EiEvPT3_,@function
_Z17warp_store_kernelILj256ELj16ELj32ELN6hipcub18WarpStoreAlgorithmE2EiEvPT3_: ; @_Z17warp_store_kernelILj256ELj16ELj32ELN6hipcub18WarpStoreAlgorithmE2EiEvPT3_
; %bb.0:
	s_load_dwordx2 s[0:1], s[4:5], 0x0
	v_lshlrev_b32_e32 v0, 4, v0
	v_and_b32_e32 v0, 0xe00, v0
	v_mbcnt_lo_u32_b32 v1, -1, 0
	v_lshl_or_b32 v3, s6, 12, v0
	v_mov_b32_e32 v4, 0
	v_mbcnt_hi_u32_b32 v2, -1, v1
	v_lshlrev_b64 v[0:1], 2, v[3:4]
	s_waitcnt lgkmcnt(0)
	v_mov_b32_e32 v3, s1
	v_add_co_u32_e32 v0, vcc, s0, v0
	v_lshlrev_b32_e32 v2, 6, v2
	v_addc_co_u32_e32 v1, vcc, v3, v1, vcc
	v_and_b32_e32 v2, 0x7c0, v2
	v_add_co_u32_e32 v5, vcc, v0, v2
	v_addc_co_u32_e32 v6, vcc, 0, v1, vcc
	v_mov_b32_e32 v1, 1
	v_mov_b32_e32 v2, 2
	;; [unrolled: 1-line block ×4, first 2 shown]
	global_store_dwordx4 v[5:6], v[0:3], off
	s_nop 0
	v_mov_b32_e32 v0, 4
	v_mov_b32_e32 v1, 5
	v_mov_b32_e32 v2, 6
	v_mov_b32_e32 v3, 7
	global_store_dwordx4 v[5:6], v[0:3], off offset:16
	s_nop 0
	v_mov_b32_e32 v0, 8
	v_mov_b32_e32 v1, 9
	v_mov_b32_e32 v2, 10
	v_mov_b32_e32 v3, 11
	global_store_dwordx4 v[5:6], v[0:3], off offset:32
	;; [unrolled: 6-line block ×3, first 2 shown]
	s_endpgm
	.section	.rodata,"a",@progbits
	.p2align	6, 0x0
	.amdhsa_kernel _Z17warp_store_kernelILj256ELj16ELj32ELN6hipcub18WarpStoreAlgorithmE2EiEvPT3_
		.amdhsa_group_segment_fixed_size 0
		.amdhsa_private_segment_fixed_size 0
		.amdhsa_kernarg_size 8
		.amdhsa_user_sgpr_count 6
		.amdhsa_user_sgpr_private_segment_buffer 1
		.amdhsa_user_sgpr_dispatch_ptr 0
		.amdhsa_user_sgpr_queue_ptr 0
		.amdhsa_user_sgpr_kernarg_segment_ptr 1
		.amdhsa_user_sgpr_dispatch_id 0
		.amdhsa_user_sgpr_flat_scratch_init 0
		.amdhsa_user_sgpr_private_segment_size 0
		.amdhsa_uses_dynamic_stack 0
		.amdhsa_system_sgpr_private_segment_wavefront_offset 0
		.amdhsa_system_sgpr_workgroup_id_x 1
		.amdhsa_system_sgpr_workgroup_id_y 0
		.amdhsa_system_sgpr_workgroup_id_z 0
		.amdhsa_system_sgpr_workgroup_info 0
		.amdhsa_system_vgpr_workitem_id 0
		.amdhsa_next_free_vgpr 7
		.amdhsa_next_free_sgpr 7
		.amdhsa_reserve_vcc 1
		.amdhsa_reserve_flat_scratch 0
		.amdhsa_float_round_mode_32 0
		.amdhsa_float_round_mode_16_64 0
		.amdhsa_float_denorm_mode_32 3
		.amdhsa_float_denorm_mode_16_64 3
		.amdhsa_dx10_clamp 1
		.amdhsa_ieee_mode 1
		.amdhsa_fp16_overflow 0
		.amdhsa_exception_fp_ieee_invalid_op 0
		.amdhsa_exception_fp_denorm_src 0
		.amdhsa_exception_fp_ieee_div_zero 0
		.amdhsa_exception_fp_ieee_overflow 0
		.amdhsa_exception_fp_ieee_underflow 0
		.amdhsa_exception_fp_ieee_inexact 0
		.amdhsa_exception_int_div_zero 0
	.end_amdhsa_kernel
	.section	.text._Z17warp_store_kernelILj256ELj16ELj32ELN6hipcub18WarpStoreAlgorithmE2EiEvPT3_,"axG",@progbits,_Z17warp_store_kernelILj256ELj16ELj32ELN6hipcub18WarpStoreAlgorithmE2EiEvPT3_,comdat
.Lfunc_end10:
	.size	_Z17warp_store_kernelILj256ELj16ELj32ELN6hipcub18WarpStoreAlgorithmE2EiEvPT3_, .Lfunc_end10-_Z17warp_store_kernelILj256ELj16ELj32ELN6hipcub18WarpStoreAlgorithmE2EiEvPT3_
                                        ; -- End function
	.set _Z17warp_store_kernelILj256ELj16ELj32ELN6hipcub18WarpStoreAlgorithmE2EiEvPT3_.num_vgpr, 7
	.set _Z17warp_store_kernelILj256ELj16ELj32ELN6hipcub18WarpStoreAlgorithmE2EiEvPT3_.num_agpr, 0
	.set _Z17warp_store_kernelILj256ELj16ELj32ELN6hipcub18WarpStoreAlgorithmE2EiEvPT3_.numbered_sgpr, 7
	.set _Z17warp_store_kernelILj256ELj16ELj32ELN6hipcub18WarpStoreAlgorithmE2EiEvPT3_.num_named_barrier, 0
	.set _Z17warp_store_kernelILj256ELj16ELj32ELN6hipcub18WarpStoreAlgorithmE2EiEvPT3_.private_seg_size, 0
	.set _Z17warp_store_kernelILj256ELj16ELj32ELN6hipcub18WarpStoreAlgorithmE2EiEvPT3_.uses_vcc, 1
	.set _Z17warp_store_kernelILj256ELj16ELj32ELN6hipcub18WarpStoreAlgorithmE2EiEvPT3_.uses_flat_scratch, 0
	.set _Z17warp_store_kernelILj256ELj16ELj32ELN6hipcub18WarpStoreAlgorithmE2EiEvPT3_.has_dyn_sized_stack, 0
	.set _Z17warp_store_kernelILj256ELj16ELj32ELN6hipcub18WarpStoreAlgorithmE2EiEvPT3_.has_recursion, 0
	.set _Z17warp_store_kernelILj256ELj16ELj32ELN6hipcub18WarpStoreAlgorithmE2EiEvPT3_.has_indirect_call, 0
	.section	.AMDGPU.csdata,"",@progbits
; Kernel info:
; codeLenInByte = 204
; TotalNumSgprs: 11
; NumVgprs: 7
; ScratchSize: 0
; MemoryBound: 1
; FloatMode: 240
; IeeeMode: 1
; LDSByteSize: 0 bytes/workgroup (compile time only)
; SGPRBlocks: 1
; VGPRBlocks: 1
; NumSGPRsForWavesPerEU: 11
; NumVGPRsForWavesPerEU: 7
; Occupancy: 10
; WaveLimiterHint : 1
; COMPUTE_PGM_RSRC2:SCRATCH_EN: 0
; COMPUTE_PGM_RSRC2:USER_SGPR: 6
; COMPUTE_PGM_RSRC2:TRAP_HANDLER: 0
; COMPUTE_PGM_RSRC2:TGID_X_EN: 1
; COMPUTE_PGM_RSRC2:TGID_Y_EN: 0
; COMPUTE_PGM_RSRC2:TGID_Z_EN: 0
; COMPUTE_PGM_RSRC2:TIDIG_COMP_CNT: 0
	.section	.text._Z17warp_store_kernelILj256ELj16ELj32ELN6hipcub18WarpStoreAlgorithmE3EiEvPT3_,"axG",@progbits,_Z17warp_store_kernelILj256ELj16ELj32ELN6hipcub18WarpStoreAlgorithmE3EiEvPT3_,comdat
	.protected	_Z17warp_store_kernelILj256ELj16ELj32ELN6hipcub18WarpStoreAlgorithmE3EiEvPT3_ ; -- Begin function _Z17warp_store_kernelILj256ELj16ELj32ELN6hipcub18WarpStoreAlgorithmE3EiEvPT3_
	.globl	_Z17warp_store_kernelILj256ELj16ELj32ELN6hipcub18WarpStoreAlgorithmE3EiEvPT3_
	.p2align	8
	.type	_Z17warp_store_kernelILj256ELj16ELj32ELN6hipcub18WarpStoreAlgorithmE3EiEvPT3_,@function
_Z17warp_store_kernelILj256ELj16ELj32ELN6hipcub18WarpStoreAlgorithmE3EiEvPT3_: ; @_Z17warp_store_kernelILj256ELj16ELj32ELN6hipcub18WarpStoreAlgorithmE3EiEvPT3_
; %bb.0:
	s_load_dwordx2 s[0:1], s[4:5], 0x0
	v_lshrrev_b32_e32 v2, 5, v0
	v_mbcnt_lo_u32_b32 v0, -1, 0
	s_lshl_b32 s2, s6, 12
	v_mbcnt_hi_u32_b32 v0, -1, v0
	v_lshl_or_b32 v3, v2, 9, s2
	v_mov_b32_e32 v4, 0
	v_and_b32_e32 v16, 31, v0
	v_lshlrev_b64 v[0:1], 2, v[3:4]
	s_waitcnt lgkmcnt(0)
	v_mov_b32_e32 v3, s1
	v_add_co_u32_e32 v17, vcc, s0, v0
	v_lshlrev_b32_e32 v0, 6, v16
	v_addc_co_u32_e32 v18, vcc, v3, v1, vcc
	v_lshl_or_b32 v5, v2, 11, v0
	v_mov_b32_e32 v1, 1
	v_mov_b32_e32 v2, 2
	v_mov_b32_e32 v3, 3
	v_mov_b32_e32 v0, v4
	ds_write_b128 v5, v[0:3]
	v_mov_b32_e32 v0, 4
	v_mov_b32_e32 v1, 5
	;; [unrolled: 1-line block ×4, first 2 shown]
	s_movk_i32 s0, 0xffc4
	ds_write_b128 v5, v[0:3] offset:16
	v_mov_b32_e32 v0, 8
	v_mov_b32_e32 v1, 9
	;; [unrolled: 1-line block ×4, first 2 shown]
	v_mad_i32_i24 v8, v16, s0, v5
	ds_write_b128 v5, v[0:3] offset:32
	v_mov_b32_e32 v0, 12
	v_mov_b32_e32 v1, 13
	;; [unrolled: 1-line block ×4, first 2 shown]
	v_add_u32_e32 v14, 0x400, v8
	ds_write_b128 v5, v[0:3] offset:48
	; wave barrier
	ds_read2_b32 v[0:1], v8 offset1:32
	ds_read2_b32 v[2:3], v8 offset0:64 offset1:96
	ds_read2_b32 v[4:5], v8 offset0:128 offset1:160
	;; [unrolled: 1-line block ×3, first 2 shown]
	ds_read2_b32 v[8:9], v14 offset1:32
	ds_read2_b32 v[10:11], v14 offset0:64 offset1:96
	ds_read2_b32 v[12:13], v14 offset0:128 offset1:160
	;; [unrolled: 1-line block ×3, first 2 shown]
	v_lshlrev_b32_e32 v16, 2, v16
	v_add_co_u32_e32 v16, vcc, v17, v16
	v_addc_co_u32_e32 v17, vcc, 0, v18, vcc
	s_waitcnt lgkmcnt(7)
	global_store_dword v[16:17], v0, off
	global_store_dword v[16:17], v1, off offset:128
	s_waitcnt lgkmcnt(6)
	global_store_dword v[16:17], v2, off offset:256
	global_store_dword v[16:17], v3, off offset:384
	s_waitcnt lgkmcnt(5)
	global_store_dword v[16:17], v4, off offset:512
	;; [unrolled: 3-line block ×7, first 2 shown]
	global_store_dword v[16:17], v15, off offset:1920
	s_endpgm
	.section	.rodata,"a",@progbits
	.p2align	6, 0x0
	.amdhsa_kernel _Z17warp_store_kernelILj256ELj16ELj32ELN6hipcub18WarpStoreAlgorithmE3EiEvPT3_
		.amdhsa_group_segment_fixed_size 16384
		.amdhsa_private_segment_fixed_size 0
		.amdhsa_kernarg_size 8
		.amdhsa_user_sgpr_count 6
		.amdhsa_user_sgpr_private_segment_buffer 1
		.amdhsa_user_sgpr_dispatch_ptr 0
		.amdhsa_user_sgpr_queue_ptr 0
		.amdhsa_user_sgpr_kernarg_segment_ptr 1
		.amdhsa_user_sgpr_dispatch_id 0
		.amdhsa_user_sgpr_flat_scratch_init 0
		.amdhsa_user_sgpr_private_segment_size 0
		.amdhsa_uses_dynamic_stack 0
		.amdhsa_system_sgpr_private_segment_wavefront_offset 0
		.amdhsa_system_sgpr_workgroup_id_x 1
		.amdhsa_system_sgpr_workgroup_id_y 0
		.amdhsa_system_sgpr_workgroup_id_z 0
		.amdhsa_system_sgpr_workgroup_info 0
		.amdhsa_system_vgpr_workitem_id 0
		.amdhsa_next_free_vgpr 49
		.amdhsa_next_free_sgpr 98
		.amdhsa_reserve_vcc 1
		.amdhsa_reserve_flat_scratch 0
		.amdhsa_float_round_mode_32 0
		.amdhsa_float_round_mode_16_64 0
		.amdhsa_float_denorm_mode_32 3
		.amdhsa_float_denorm_mode_16_64 3
		.amdhsa_dx10_clamp 1
		.amdhsa_ieee_mode 1
		.amdhsa_fp16_overflow 0
		.amdhsa_exception_fp_ieee_invalid_op 0
		.amdhsa_exception_fp_denorm_src 0
		.amdhsa_exception_fp_ieee_div_zero 0
		.amdhsa_exception_fp_ieee_overflow 0
		.amdhsa_exception_fp_ieee_underflow 0
		.amdhsa_exception_fp_ieee_inexact 0
		.amdhsa_exception_int_div_zero 0
	.end_amdhsa_kernel
	.section	.text._Z17warp_store_kernelILj256ELj16ELj32ELN6hipcub18WarpStoreAlgorithmE3EiEvPT3_,"axG",@progbits,_Z17warp_store_kernelILj256ELj16ELj32ELN6hipcub18WarpStoreAlgorithmE3EiEvPT3_,comdat
.Lfunc_end11:
	.size	_Z17warp_store_kernelILj256ELj16ELj32ELN6hipcub18WarpStoreAlgorithmE3EiEvPT3_, .Lfunc_end11-_Z17warp_store_kernelILj256ELj16ELj32ELN6hipcub18WarpStoreAlgorithmE3EiEvPT3_
                                        ; -- End function
	.set _Z17warp_store_kernelILj256ELj16ELj32ELN6hipcub18WarpStoreAlgorithmE3EiEvPT3_.num_vgpr, 19
	.set _Z17warp_store_kernelILj256ELj16ELj32ELN6hipcub18WarpStoreAlgorithmE3EiEvPT3_.num_agpr, 0
	.set _Z17warp_store_kernelILj256ELj16ELj32ELN6hipcub18WarpStoreAlgorithmE3EiEvPT3_.numbered_sgpr, 7
	.set _Z17warp_store_kernelILj256ELj16ELj32ELN6hipcub18WarpStoreAlgorithmE3EiEvPT3_.num_named_barrier, 0
	.set _Z17warp_store_kernelILj256ELj16ELj32ELN6hipcub18WarpStoreAlgorithmE3EiEvPT3_.private_seg_size, 0
	.set _Z17warp_store_kernelILj256ELj16ELj32ELN6hipcub18WarpStoreAlgorithmE3EiEvPT3_.uses_vcc, 1
	.set _Z17warp_store_kernelILj256ELj16ELj32ELN6hipcub18WarpStoreAlgorithmE3EiEvPT3_.uses_flat_scratch, 0
	.set _Z17warp_store_kernelILj256ELj16ELj32ELN6hipcub18WarpStoreAlgorithmE3EiEvPT3_.has_dyn_sized_stack, 0
	.set _Z17warp_store_kernelILj256ELj16ELj32ELN6hipcub18WarpStoreAlgorithmE3EiEvPT3_.has_recursion, 0
	.set _Z17warp_store_kernelILj256ELj16ELj32ELN6hipcub18WarpStoreAlgorithmE3EiEvPT3_.has_indirect_call, 0
	.section	.AMDGPU.csdata,"",@progbits
; Kernel info:
; codeLenInByte = 440
; TotalNumSgprs: 11
; NumVgprs: 19
; ScratchSize: 0
; MemoryBound: 1
; FloatMode: 240
; IeeeMode: 1
; LDSByteSize: 16384 bytes/workgroup (compile time only)
; SGPRBlocks: 12
; VGPRBlocks: 12
; NumSGPRsForWavesPerEU: 102
; NumVGPRsForWavesPerEU: 49
; Occupancy: 4
; WaveLimiterHint : 1
; COMPUTE_PGM_RSRC2:SCRATCH_EN: 0
; COMPUTE_PGM_RSRC2:USER_SGPR: 6
; COMPUTE_PGM_RSRC2:TRAP_HANDLER: 0
; COMPUTE_PGM_RSRC2:TGID_X_EN: 1
; COMPUTE_PGM_RSRC2:TGID_Y_EN: 0
; COMPUTE_PGM_RSRC2:TGID_Z_EN: 0
; COMPUTE_PGM_RSRC2:TIDIG_COMP_CNT: 0
	.section	.text._Z17warp_store_kernelILj256ELj32ELj32ELN6hipcub18WarpStoreAlgorithmE0EiEvPT3_,"axG",@progbits,_Z17warp_store_kernelILj256ELj32ELj32ELN6hipcub18WarpStoreAlgorithmE0EiEvPT3_,comdat
	.protected	_Z17warp_store_kernelILj256ELj32ELj32ELN6hipcub18WarpStoreAlgorithmE0EiEvPT3_ ; -- Begin function _Z17warp_store_kernelILj256ELj32ELj32ELN6hipcub18WarpStoreAlgorithmE0EiEvPT3_
	.globl	_Z17warp_store_kernelILj256ELj32ELj32ELN6hipcub18WarpStoreAlgorithmE0EiEvPT3_
	.p2align	8
	.type	_Z17warp_store_kernelILj256ELj32ELj32ELN6hipcub18WarpStoreAlgorithmE0EiEvPT3_,@function
_Z17warp_store_kernelILj256ELj32ELj32ELN6hipcub18WarpStoreAlgorithmE0EiEvPT3_: ; @_Z17warp_store_kernelILj256ELj32ELj32ELN6hipcub18WarpStoreAlgorithmE0EiEvPT3_
; %bb.0:
	s_load_dwordx2 s[0:1], s[4:5], 0x0
	v_lshlrev_b32_e32 v0, 5, v0
	v_and_b32_e32 v0, 0x1c00, v0
	v_mbcnt_lo_u32_b32 v1, -1, 0
	v_lshl_or_b32 v3, s6, 13, v0
	v_mov_b32_e32 v4, 0
	v_mbcnt_hi_u32_b32 v2, -1, v1
	v_lshlrev_b64 v[0:1], 2, v[3:4]
	s_waitcnt lgkmcnt(0)
	v_mov_b32_e32 v3, s1
	v_add_co_u32_e32 v0, vcc, s0, v0
	v_lshlrev_b32_e32 v2, 7, v2
	v_addc_co_u32_e32 v1, vcc, v3, v1, vcc
	v_and_b32_e32 v2, 0xf80, v2
	v_add_co_u32_e32 v5, vcc, v0, v2
	v_addc_co_u32_e32 v6, vcc, 0, v1, vcc
	v_mov_b32_e32 v1, 1
	v_mov_b32_e32 v2, 2
	;; [unrolled: 1-line block ×4, first 2 shown]
	global_store_dwordx4 v[5:6], v[0:3], off
	s_nop 0
	v_mov_b32_e32 v0, 4
	v_mov_b32_e32 v1, 5
	v_mov_b32_e32 v2, 6
	v_mov_b32_e32 v3, 7
	global_store_dwordx4 v[5:6], v[0:3], off offset:16
	s_nop 0
	v_mov_b32_e32 v0, 8
	v_mov_b32_e32 v1, 9
	v_mov_b32_e32 v2, 10
	v_mov_b32_e32 v3, 11
	global_store_dwordx4 v[5:6], v[0:3], off offset:32
	;; [unrolled: 6-line block ×7, first 2 shown]
	s_endpgm
	.section	.rodata,"a",@progbits
	.p2align	6, 0x0
	.amdhsa_kernel _Z17warp_store_kernelILj256ELj32ELj32ELN6hipcub18WarpStoreAlgorithmE0EiEvPT3_
		.amdhsa_group_segment_fixed_size 0
		.amdhsa_private_segment_fixed_size 0
		.amdhsa_kernarg_size 8
		.amdhsa_user_sgpr_count 6
		.amdhsa_user_sgpr_private_segment_buffer 1
		.amdhsa_user_sgpr_dispatch_ptr 0
		.amdhsa_user_sgpr_queue_ptr 0
		.amdhsa_user_sgpr_kernarg_segment_ptr 1
		.amdhsa_user_sgpr_dispatch_id 0
		.amdhsa_user_sgpr_flat_scratch_init 0
		.amdhsa_user_sgpr_private_segment_size 0
		.amdhsa_uses_dynamic_stack 0
		.amdhsa_system_sgpr_private_segment_wavefront_offset 0
		.amdhsa_system_sgpr_workgroup_id_x 1
		.amdhsa_system_sgpr_workgroup_id_y 0
		.amdhsa_system_sgpr_workgroup_id_z 0
		.amdhsa_system_sgpr_workgroup_info 0
		.amdhsa_system_vgpr_workitem_id 0
		.amdhsa_next_free_vgpr 7
		.amdhsa_next_free_sgpr 7
		.amdhsa_reserve_vcc 1
		.amdhsa_reserve_flat_scratch 0
		.amdhsa_float_round_mode_32 0
		.amdhsa_float_round_mode_16_64 0
		.amdhsa_float_denorm_mode_32 3
		.amdhsa_float_denorm_mode_16_64 3
		.amdhsa_dx10_clamp 1
		.amdhsa_ieee_mode 1
		.amdhsa_fp16_overflow 0
		.amdhsa_exception_fp_ieee_invalid_op 0
		.amdhsa_exception_fp_denorm_src 0
		.amdhsa_exception_fp_ieee_div_zero 0
		.amdhsa_exception_fp_ieee_overflow 0
		.amdhsa_exception_fp_ieee_underflow 0
		.amdhsa_exception_fp_ieee_inexact 0
		.amdhsa_exception_int_div_zero 0
	.end_amdhsa_kernel
	.section	.text._Z17warp_store_kernelILj256ELj32ELj32ELN6hipcub18WarpStoreAlgorithmE0EiEvPT3_,"axG",@progbits,_Z17warp_store_kernelILj256ELj32ELj32ELN6hipcub18WarpStoreAlgorithmE0EiEvPT3_,comdat
.Lfunc_end12:
	.size	_Z17warp_store_kernelILj256ELj32ELj32ELN6hipcub18WarpStoreAlgorithmE0EiEvPT3_, .Lfunc_end12-_Z17warp_store_kernelILj256ELj32ELj32ELN6hipcub18WarpStoreAlgorithmE0EiEvPT3_
                                        ; -- End function
	.set _Z17warp_store_kernelILj256ELj32ELj32ELN6hipcub18WarpStoreAlgorithmE0EiEvPT3_.num_vgpr, 7
	.set _Z17warp_store_kernelILj256ELj32ELj32ELN6hipcub18WarpStoreAlgorithmE0EiEvPT3_.num_agpr, 0
	.set _Z17warp_store_kernelILj256ELj32ELj32ELN6hipcub18WarpStoreAlgorithmE0EiEvPT3_.numbered_sgpr, 7
	.set _Z17warp_store_kernelILj256ELj32ELj32ELN6hipcub18WarpStoreAlgorithmE0EiEvPT3_.num_named_barrier, 0
	.set _Z17warp_store_kernelILj256ELj32ELj32ELN6hipcub18WarpStoreAlgorithmE0EiEvPT3_.private_seg_size, 0
	.set _Z17warp_store_kernelILj256ELj32ELj32ELN6hipcub18WarpStoreAlgorithmE0EiEvPT3_.uses_vcc, 1
	.set _Z17warp_store_kernelILj256ELj32ELj32ELN6hipcub18WarpStoreAlgorithmE0EiEvPT3_.uses_flat_scratch, 0
	.set _Z17warp_store_kernelILj256ELj32ELj32ELN6hipcub18WarpStoreAlgorithmE0EiEvPT3_.has_dyn_sized_stack, 0
	.set _Z17warp_store_kernelILj256ELj32ELj32ELN6hipcub18WarpStoreAlgorithmE0EiEvPT3_.has_recursion, 0
	.set _Z17warp_store_kernelILj256ELj32ELj32ELN6hipcub18WarpStoreAlgorithmE0EiEvPT3_.has_indirect_call, 0
	.section	.AMDGPU.csdata,"",@progbits
; Kernel info:
; codeLenInByte = 316
; TotalNumSgprs: 11
; NumVgprs: 7
; ScratchSize: 0
; MemoryBound: 1
; FloatMode: 240
; IeeeMode: 1
; LDSByteSize: 0 bytes/workgroup (compile time only)
; SGPRBlocks: 1
; VGPRBlocks: 1
; NumSGPRsForWavesPerEU: 11
; NumVGPRsForWavesPerEU: 7
; Occupancy: 10
; WaveLimiterHint : 1
; COMPUTE_PGM_RSRC2:SCRATCH_EN: 0
; COMPUTE_PGM_RSRC2:USER_SGPR: 6
; COMPUTE_PGM_RSRC2:TRAP_HANDLER: 0
; COMPUTE_PGM_RSRC2:TGID_X_EN: 1
; COMPUTE_PGM_RSRC2:TGID_Y_EN: 0
; COMPUTE_PGM_RSRC2:TGID_Z_EN: 0
; COMPUTE_PGM_RSRC2:TIDIG_COMP_CNT: 0
	.section	.text._Z17warp_store_kernelILj256ELj32ELj32ELN6hipcub18WarpStoreAlgorithmE1EiEvPT3_,"axG",@progbits,_Z17warp_store_kernelILj256ELj32ELj32ELN6hipcub18WarpStoreAlgorithmE1EiEvPT3_,comdat
	.protected	_Z17warp_store_kernelILj256ELj32ELj32ELN6hipcub18WarpStoreAlgorithmE1EiEvPT3_ ; -- Begin function _Z17warp_store_kernelILj256ELj32ELj32ELN6hipcub18WarpStoreAlgorithmE1EiEvPT3_
	.globl	_Z17warp_store_kernelILj256ELj32ELj32ELN6hipcub18WarpStoreAlgorithmE1EiEvPT3_
	.p2align	8
	.type	_Z17warp_store_kernelILj256ELj32ELj32ELN6hipcub18WarpStoreAlgorithmE1EiEvPT3_,@function
_Z17warp_store_kernelILj256ELj32ELj32ELN6hipcub18WarpStoreAlgorithmE1EiEvPT3_: ; @_Z17warp_store_kernelILj256ELj32ELj32ELN6hipcub18WarpStoreAlgorithmE1EiEvPT3_
; %bb.0:
	s_load_dwordx2 s[0:1], s[4:5], 0x0
	v_lshlrev_b32_e32 v0, 5, v0
	v_mbcnt_lo_u32_b32 v2, -1, 0
	v_and_b32_e32 v0, 0x1c00, v0
	v_mov_b32_e32 v1, 0
	v_mbcnt_hi_u32_b32 v2, -1, v2
	v_lshl_or_b32 v0, s6, 13, v0
	v_and_b32_e32 v5, 31, v2
	v_lshlrev_b64 v[2:3], 2, v[0:1]
	s_waitcnt lgkmcnt(0)
	v_mov_b32_e32 v0, s1
	v_add_co_u32_e32 v2, vcc, s0, v2
	v_addc_co_u32_e32 v0, vcc, v0, v3, vcc
	v_lshlrev_b32_e32 v3, 2, v5
	v_add_co_u32_e32 v2, vcc, v2, v3
	v_addc_co_u32_e32 v3, vcc, 0, v0, vcc
	v_mov_b32_e32 v0, 1
	v_mov_b32_e32 v8, 2
	global_store_dword v[2:3], v1, off
	global_store_dword v[2:3], v0, off offset:128
	global_store_dword v[2:3], v8, off offset:256
	v_mov_b32_e32 v0, 3
	global_store_dword v[2:3], v0, off offset:384
	v_mov_b32_e32 v0, 4
	v_mov_b32_e32 v6, 5
	global_store_dword v[2:3], v0, off offset:512
	global_store_dword v[2:3], v6, off offset:640
	v_mov_b32_e32 v0, 6
	global_store_dword v[2:3], v0, off offset:768
	v_mov_b32_e32 v0, 7
	;; [unrolled: 2-line block ×7, first 2 shown]
	v_mov_b32_e32 v7, 13
	global_store_dword v[2:3], v0, off offset:1536
	global_store_dword v[2:3], v7, off offset:1664
	v_mov_b32_e32 v0, 14
	global_store_dword v[2:3], v0, off offset:1792
	v_mov_b32_e32 v0, 15
	;; [unrolled: 2-line block ×17, first 2 shown]
	v_mov_b32_e32 v4, 31
	global_store_dword v[2:3], v0, off offset:3840
	global_store_dword v[2:3], v4, off offset:3968
	s_endpgm
	.section	.rodata,"a",@progbits
	.p2align	6, 0x0
	.amdhsa_kernel _Z17warp_store_kernelILj256ELj32ELj32ELN6hipcub18WarpStoreAlgorithmE1EiEvPT3_
		.amdhsa_group_segment_fixed_size 0
		.amdhsa_private_segment_fixed_size 0
		.amdhsa_kernarg_size 8
		.amdhsa_user_sgpr_count 6
		.amdhsa_user_sgpr_private_segment_buffer 1
		.amdhsa_user_sgpr_dispatch_ptr 0
		.amdhsa_user_sgpr_queue_ptr 0
		.amdhsa_user_sgpr_kernarg_segment_ptr 1
		.amdhsa_user_sgpr_dispatch_id 0
		.amdhsa_user_sgpr_flat_scratch_init 0
		.amdhsa_user_sgpr_private_segment_size 0
		.amdhsa_uses_dynamic_stack 0
		.amdhsa_system_sgpr_private_segment_wavefront_offset 0
		.amdhsa_system_sgpr_workgroup_id_x 1
		.amdhsa_system_sgpr_workgroup_id_y 0
		.amdhsa_system_sgpr_workgroup_id_z 0
		.amdhsa_system_sgpr_workgroup_info 0
		.amdhsa_system_vgpr_workitem_id 0
		.amdhsa_next_free_vgpr 9
		.amdhsa_next_free_sgpr 7
		.amdhsa_reserve_vcc 1
		.amdhsa_reserve_flat_scratch 0
		.amdhsa_float_round_mode_32 0
		.amdhsa_float_round_mode_16_64 0
		.amdhsa_float_denorm_mode_32 3
		.amdhsa_float_denorm_mode_16_64 3
		.amdhsa_dx10_clamp 1
		.amdhsa_ieee_mode 1
		.amdhsa_fp16_overflow 0
		.amdhsa_exception_fp_ieee_invalid_op 0
		.amdhsa_exception_fp_denorm_src 0
		.amdhsa_exception_fp_ieee_div_zero 0
		.amdhsa_exception_fp_ieee_overflow 0
		.amdhsa_exception_fp_ieee_underflow 0
		.amdhsa_exception_fp_ieee_inexact 0
		.amdhsa_exception_int_div_zero 0
	.end_amdhsa_kernel
	.section	.text._Z17warp_store_kernelILj256ELj32ELj32ELN6hipcub18WarpStoreAlgorithmE1EiEvPT3_,"axG",@progbits,_Z17warp_store_kernelILj256ELj32ELj32ELN6hipcub18WarpStoreAlgorithmE1EiEvPT3_,comdat
.Lfunc_end13:
	.size	_Z17warp_store_kernelILj256ELj32ELj32ELN6hipcub18WarpStoreAlgorithmE1EiEvPT3_, .Lfunc_end13-_Z17warp_store_kernelILj256ELj32ELj32ELN6hipcub18WarpStoreAlgorithmE1EiEvPT3_
                                        ; -- End function
	.set _Z17warp_store_kernelILj256ELj32ELj32ELN6hipcub18WarpStoreAlgorithmE1EiEvPT3_.num_vgpr, 9
	.set _Z17warp_store_kernelILj256ELj32ELj32ELN6hipcub18WarpStoreAlgorithmE1EiEvPT3_.num_agpr, 0
	.set _Z17warp_store_kernelILj256ELj32ELj32ELN6hipcub18WarpStoreAlgorithmE1EiEvPT3_.numbered_sgpr, 7
	.set _Z17warp_store_kernelILj256ELj32ELj32ELN6hipcub18WarpStoreAlgorithmE1EiEvPT3_.num_named_barrier, 0
	.set _Z17warp_store_kernelILj256ELj32ELj32ELN6hipcub18WarpStoreAlgorithmE1EiEvPT3_.private_seg_size, 0
	.set _Z17warp_store_kernelILj256ELj32ELj32ELN6hipcub18WarpStoreAlgorithmE1EiEvPT3_.uses_vcc, 1
	.set _Z17warp_store_kernelILj256ELj32ELj32ELN6hipcub18WarpStoreAlgorithmE1EiEvPT3_.uses_flat_scratch, 0
	.set _Z17warp_store_kernelILj256ELj32ELj32ELN6hipcub18WarpStoreAlgorithmE1EiEvPT3_.has_dyn_sized_stack, 0
	.set _Z17warp_store_kernelILj256ELj32ELj32ELN6hipcub18WarpStoreAlgorithmE1EiEvPT3_.has_recursion, 0
	.set _Z17warp_store_kernelILj256ELj32ELj32ELN6hipcub18WarpStoreAlgorithmE1EiEvPT3_.has_indirect_call, 0
	.section	.AMDGPU.csdata,"",@progbits
; Kernel info:
; codeLenInByte = 472
; TotalNumSgprs: 11
; NumVgprs: 9
; ScratchSize: 0
; MemoryBound: 1
; FloatMode: 240
; IeeeMode: 1
; LDSByteSize: 0 bytes/workgroup (compile time only)
; SGPRBlocks: 1
; VGPRBlocks: 2
; NumSGPRsForWavesPerEU: 11
; NumVGPRsForWavesPerEU: 9
; Occupancy: 10
; WaveLimiterHint : 1
; COMPUTE_PGM_RSRC2:SCRATCH_EN: 0
; COMPUTE_PGM_RSRC2:USER_SGPR: 6
; COMPUTE_PGM_RSRC2:TRAP_HANDLER: 0
; COMPUTE_PGM_RSRC2:TGID_X_EN: 1
; COMPUTE_PGM_RSRC2:TGID_Y_EN: 0
; COMPUTE_PGM_RSRC2:TGID_Z_EN: 0
; COMPUTE_PGM_RSRC2:TIDIG_COMP_CNT: 0
	.section	.text._Z17warp_store_kernelILj256ELj32ELj32ELN6hipcub18WarpStoreAlgorithmE2EiEvPT3_,"axG",@progbits,_Z17warp_store_kernelILj256ELj32ELj32ELN6hipcub18WarpStoreAlgorithmE2EiEvPT3_,comdat
	.protected	_Z17warp_store_kernelILj256ELj32ELj32ELN6hipcub18WarpStoreAlgorithmE2EiEvPT3_ ; -- Begin function _Z17warp_store_kernelILj256ELj32ELj32ELN6hipcub18WarpStoreAlgorithmE2EiEvPT3_
	.globl	_Z17warp_store_kernelILj256ELj32ELj32ELN6hipcub18WarpStoreAlgorithmE2EiEvPT3_
	.p2align	8
	.type	_Z17warp_store_kernelILj256ELj32ELj32ELN6hipcub18WarpStoreAlgorithmE2EiEvPT3_,@function
_Z17warp_store_kernelILj256ELj32ELj32ELN6hipcub18WarpStoreAlgorithmE2EiEvPT3_: ; @_Z17warp_store_kernelILj256ELj32ELj32ELN6hipcub18WarpStoreAlgorithmE2EiEvPT3_
; %bb.0:
	s_load_dwordx2 s[0:1], s[4:5], 0x0
	v_lshlrev_b32_e32 v0, 5, v0
	v_and_b32_e32 v0, 0x1c00, v0
	v_mbcnt_lo_u32_b32 v1, -1, 0
	v_lshl_or_b32 v3, s6, 13, v0
	v_mov_b32_e32 v4, 0
	v_mbcnt_hi_u32_b32 v2, -1, v1
	v_lshlrev_b64 v[0:1], 2, v[3:4]
	s_waitcnt lgkmcnt(0)
	v_mov_b32_e32 v3, s1
	v_add_co_u32_e32 v0, vcc, s0, v0
	v_lshlrev_b32_e32 v2, 7, v2
	v_addc_co_u32_e32 v1, vcc, v3, v1, vcc
	v_and_b32_e32 v2, 0xf80, v2
	v_add_co_u32_e32 v5, vcc, v0, v2
	v_addc_co_u32_e32 v6, vcc, 0, v1, vcc
	v_mov_b32_e32 v1, 1
	v_mov_b32_e32 v2, 2
	;; [unrolled: 1-line block ×4, first 2 shown]
	global_store_dwordx4 v[5:6], v[0:3], off
	s_nop 0
	v_mov_b32_e32 v0, 4
	v_mov_b32_e32 v1, 5
	v_mov_b32_e32 v2, 6
	v_mov_b32_e32 v3, 7
	global_store_dwordx4 v[5:6], v[0:3], off offset:16
	s_nop 0
	v_mov_b32_e32 v0, 8
	v_mov_b32_e32 v1, 9
	v_mov_b32_e32 v2, 10
	v_mov_b32_e32 v3, 11
	global_store_dwordx4 v[5:6], v[0:3], off offset:32
	;; [unrolled: 6-line block ×7, first 2 shown]
	s_endpgm
	.section	.rodata,"a",@progbits
	.p2align	6, 0x0
	.amdhsa_kernel _Z17warp_store_kernelILj256ELj32ELj32ELN6hipcub18WarpStoreAlgorithmE2EiEvPT3_
		.amdhsa_group_segment_fixed_size 0
		.amdhsa_private_segment_fixed_size 0
		.amdhsa_kernarg_size 8
		.amdhsa_user_sgpr_count 6
		.amdhsa_user_sgpr_private_segment_buffer 1
		.amdhsa_user_sgpr_dispatch_ptr 0
		.amdhsa_user_sgpr_queue_ptr 0
		.amdhsa_user_sgpr_kernarg_segment_ptr 1
		.amdhsa_user_sgpr_dispatch_id 0
		.amdhsa_user_sgpr_flat_scratch_init 0
		.amdhsa_user_sgpr_private_segment_size 0
		.amdhsa_uses_dynamic_stack 0
		.amdhsa_system_sgpr_private_segment_wavefront_offset 0
		.amdhsa_system_sgpr_workgroup_id_x 1
		.amdhsa_system_sgpr_workgroup_id_y 0
		.amdhsa_system_sgpr_workgroup_id_z 0
		.amdhsa_system_sgpr_workgroup_info 0
		.amdhsa_system_vgpr_workitem_id 0
		.amdhsa_next_free_vgpr 7
		.amdhsa_next_free_sgpr 7
		.amdhsa_reserve_vcc 1
		.amdhsa_reserve_flat_scratch 0
		.amdhsa_float_round_mode_32 0
		.amdhsa_float_round_mode_16_64 0
		.amdhsa_float_denorm_mode_32 3
		.amdhsa_float_denorm_mode_16_64 3
		.amdhsa_dx10_clamp 1
		.amdhsa_ieee_mode 1
		.amdhsa_fp16_overflow 0
		.amdhsa_exception_fp_ieee_invalid_op 0
		.amdhsa_exception_fp_denorm_src 0
		.amdhsa_exception_fp_ieee_div_zero 0
		.amdhsa_exception_fp_ieee_overflow 0
		.amdhsa_exception_fp_ieee_underflow 0
		.amdhsa_exception_fp_ieee_inexact 0
		.amdhsa_exception_int_div_zero 0
	.end_amdhsa_kernel
	.section	.text._Z17warp_store_kernelILj256ELj32ELj32ELN6hipcub18WarpStoreAlgorithmE2EiEvPT3_,"axG",@progbits,_Z17warp_store_kernelILj256ELj32ELj32ELN6hipcub18WarpStoreAlgorithmE2EiEvPT3_,comdat
.Lfunc_end14:
	.size	_Z17warp_store_kernelILj256ELj32ELj32ELN6hipcub18WarpStoreAlgorithmE2EiEvPT3_, .Lfunc_end14-_Z17warp_store_kernelILj256ELj32ELj32ELN6hipcub18WarpStoreAlgorithmE2EiEvPT3_
                                        ; -- End function
	.set _Z17warp_store_kernelILj256ELj32ELj32ELN6hipcub18WarpStoreAlgorithmE2EiEvPT3_.num_vgpr, 7
	.set _Z17warp_store_kernelILj256ELj32ELj32ELN6hipcub18WarpStoreAlgorithmE2EiEvPT3_.num_agpr, 0
	.set _Z17warp_store_kernelILj256ELj32ELj32ELN6hipcub18WarpStoreAlgorithmE2EiEvPT3_.numbered_sgpr, 7
	.set _Z17warp_store_kernelILj256ELj32ELj32ELN6hipcub18WarpStoreAlgorithmE2EiEvPT3_.num_named_barrier, 0
	.set _Z17warp_store_kernelILj256ELj32ELj32ELN6hipcub18WarpStoreAlgorithmE2EiEvPT3_.private_seg_size, 0
	.set _Z17warp_store_kernelILj256ELj32ELj32ELN6hipcub18WarpStoreAlgorithmE2EiEvPT3_.uses_vcc, 1
	.set _Z17warp_store_kernelILj256ELj32ELj32ELN6hipcub18WarpStoreAlgorithmE2EiEvPT3_.uses_flat_scratch, 0
	.set _Z17warp_store_kernelILj256ELj32ELj32ELN6hipcub18WarpStoreAlgorithmE2EiEvPT3_.has_dyn_sized_stack, 0
	.set _Z17warp_store_kernelILj256ELj32ELj32ELN6hipcub18WarpStoreAlgorithmE2EiEvPT3_.has_recursion, 0
	.set _Z17warp_store_kernelILj256ELj32ELj32ELN6hipcub18WarpStoreAlgorithmE2EiEvPT3_.has_indirect_call, 0
	.section	.AMDGPU.csdata,"",@progbits
; Kernel info:
; codeLenInByte = 316
; TotalNumSgprs: 11
; NumVgprs: 7
; ScratchSize: 0
; MemoryBound: 1
; FloatMode: 240
; IeeeMode: 1
; LDSByteSize: 0 bytes/workgroup (compile time only)
; SGPRBlocks: 1
; VGPRBlocks: 1
; NumSGPRsForWavesPerEU: 11
; NumVGPRsForWavesPerEU: 7
; Occupancy: 10
; WaveLimiterHint : 1
; COMPUTE_PGM_RSRC2:SCRATCH_EN: 0
; COMPUTE_PGM_RSRC2:USER_SGPR: 6
; COMPUTE_PGM_RSRC2:TRAP_HANDLER: 0
; COMPUTE_PGM_RSRC2:TGID_X_EN: 1
; COMPUTE_PGM_RSRC2:TGID_Y_EN: 0
; COMPUTE_PGM_RSRC2:TGID_Z_EN: 0
; COMPUTE_PGM_RSRC2:TIDIG_COMP_CNT: 0
	.section	.text._Z17warp_store_kernelILj256ELj32ELj32ELN6hipcub18WarpStoreAlgorithmE3EiEvPT3_,"axG",@progbits,_Z17warp_store_kernelILj256ELj32ELj32ELN6hipcub18WarpStoreAlgorithmE3EiEvPT3_,comdat
	.protected	_Z17warp_store_kernelILj256ELj32ELj32ELN6hipcub18WarpStoreAlgorithmE3EiEvPT3_ ; -- Begin function _Z17warp_store_kernelILj256ELj32ELj32ELN6hipcub18WarpStoreAlgorithmE3EiEvPT3_
	.globl	_Z17warp_store_kernelILj256ELj32ELj32ELN6hipcub18WarpStoreAlgorithmE3EiEvPT3_
	.p2align	8
	.type	_Z17warp_store_kernelILj256ELj32ELj32ELN6hipcub18WarpStoreAlgorithmE3EiEvPT3_,@function
_Z17warp_store_kernelILj256ELj32ELj32ELN6hipcub18WarpStoreAlgorithmE3EiEvPT3_: ; @_Z17warp_store_kernelILj256ELj32ELj32ELN6hipcub18WarpStoreAlgorithmE3EiEvPT3_
; %bb.0:
	s_load_dwordx2 s[0:1], s[4:5], 0x0
	v_lshrrev_b32_e32 v2, 5, v0
	v_mbcnt_lo_u32_b32 v0, -1, 0
	s_lshl_b32 s2, s6, 13
	v_mbcnt_hi_u32_b32 v0, -1, v0
	v_lshl_or_b32 v3, v2, 10, s2
	v_mov_b32_e32 v4, 0
	v_and_b32_e32 v32, 31, v0
	v_lshlrev_b64 v[0:1], 2, v[3:4]
	s_waitcnt lgkmcnt(0)
	v_mov_b32_e32 v3, s1
	v_add_co_u32_e32 v33, vcc, s0, v0
	v_lshlrev_b32_e32 v0, 7, v32
	v_addc_co_u32_e32 v34, vcc, v3, v1, vcc
	v_lshl_or_b32 v5, v2, 12, v0
	v_mov_b32_e32 v1, 1
	v_mov_b32_e32 v2, 2
	;; [unrolled: 1-line block ×4, first 2 shown]
	ds_write_b128 v5, v[0:3]
	v_mov_b32_e32 v0, 4
	v_mov_b32_e32 v1, 5
	v_mov_b32_e32 v2, 6
	v_mov_b32_e32 v3, 7
	ds_write_b128 v5, v[0:3] offset:16
	v_mov_b32_e32 v0, 8
	v_mov_b32_e32 v1, 9
	v_mov_b32_e32 v2, 10
	v_mov_b32_e32 v3, 11
	ds_write_b128 v5, v[0:3] offset:32
	;; [unrolled: 5-line block ×4, first 2 shown]
	v_mov_b32_e32 v0, 20
	v_mov_b32_e32 v1, 21
	;; [unrolled: 1-line block ×4, first 2 shown]
	s_movk_i32 s0, 0xff84
	ds_write_b128 v5, v[0:3] offset:80
	v_mov_b32_e32 v0, 24
	v_mov_b32_e32 v1, 25
	;; [unrolled: 1-line block ×4, first 2 shown]
	v_mad_i32_i24 v24, v32, s0, v5
	ds_write_b128 v5, v[0:3] offset:96
	v_mov_b32_e32 v0, 28
	v_mov_b32_e32 v1, 29
	;; [unrolled: 1-line block ×4, first 2 shown]
	v_add_u32_e32 v14, 0x400, v24
	v_add_u32_e32 v22, 0x800, v24
	;; [unrolled: 1-line block ×3, first 2 shown]
	ds_write_b128 v5, v[0:3] offset:112
	; wave barrier
	ds_read2_b32 v[0:1], v24 offset1:32
	ds_read2_b32 v[2:3], v24 offset0:64 offset1:96
	ds_read2_b32 v[4:5], v24 offset0:128 offset1:160
	ds_read2_b32 v[6:7], v24 offset0:192 offset1:224
	ds_read2_b32 v[8:9], v14 offset1:32
	ds_read2_b32 v[10:11], v14 offset0:64 offset1:96
	ds_read2_b32 v[12:13], v14 offset0:128 offset1:160
	ds_read2_b32 v[14:15], v14 offset0:192 offset1:224
	;; [unrolled: 4-line block ×4, first 2 shown]
	v_lshlrev_b32_e32 v32, 2, v32
	v_add_co_u32_e32 v32, vcc, v33, v32
	v_addc_co_u32_e32 v33, vcc, 0, v34, vcc
	s_waitcnt lgkmcnt(14)
	global_store_dword v[32:33], v0, off
	global_store_dword v[32:33], v1, off offset:128
	global_store_dword v[32:33], v2, off offset:256
	;; [unrolled: 1-line block ×3, first 2 shown]
	s_waitcnt lgkmcnt(13)
	global_store_dword v[32:33], v4, off offset:512
	global_store_dword v[32:33], v5, off offset:640
	s_waitcnt lgkmcnt(12)
	global_store_dword v[32:33], v6, off offset:768
	global_store_dword v[32:33], v7, off offset:896
	s_waitcnt lgkmcnt(11)
	global_store_dword v[32:33], v8, off offset:1024
	global_store_dword v[32:33], v9, off offset:1152
	s_waitcnt lgkmcnt(10)
	global_store_dword v[32:33], v10, off offset:1280
	global_store_dword v[32:33], v11, off offset:1408
	s_waitcnt lgkmcnt(9)
	global_store_dword v[32:33], v12, off offset:1536
	global_store_dword v[32:33], v13, off offset:1664
	s_waitcnt lgkmcnt(8)
	global_store_dword v[32:33], v14, off offset:1792
	global_store_dword v[32:33], v15, off offset:1920
	s_waitcnt lgkmcnt(7)
	global_store_dword v[32:33], v16, off offset:2048
	global_store_dword v[32:33], v17, off offset:2176
	s_waitcnt lgkmcnt(6)
	global_store_dword v[32:33], v18, off offset:2304
	global_store_dword v[32:33], v19, off offset:2432
	s_waitcnt lgkmcnt(5)
	global_store_dword v[32:33], v20, off offset:2560
	global_store_dword v[32:33], v21, off offset:2688
	s_waitcnt lgkmcnt(4)
	global_store_dword v[32:33], v22, off offset:2816
	global_store_dword v[32:33], v23, off offset:2944
	s_waitcnt lgkmcnt(3)
	global_store_dword v[32:33], v24, off offset:3072
	global_store_dword v[32:33], v25, off offset:3200
	s_waitcnt lgkmcnt(2)
	global_store_dword v[32:33], v26, off offset:3328
	global_store_dword v[32:33], v27, off offset:3456
	s_waitcnt lgkmcnt(1)
	global_store_dword v[32:33], v28, off offset:3584
	global_store_dword v[32:33], v29, off offset:3712
	s_waitcnt lgkmcnt(0)
	global_store_dword v[32:33], v30, off offset:3840
	global_store_dword v[32:33], v31, off offset:3968
	s_endpgm
	.section	.rodata,"a",@progbits
	.p2align	6, 0x0
	.amdhsa_kernel _Z17warp_store_kernelILj256ELj32ELj32ELN6hipcub18WarpStoreAlgorithmE3EiEvPT3_
		.amdhsa_group_segment_fixed_size 32768
		.amdhsa_private_segment_fixed_size 0
		.amdhsa_kernarg_size 8
		.amdhsa_user_sgpr_count 6
		.amdhsa_user_sgpr_private_segment_buffer 1
		.amdhsa_user_sgpr_dispatch_ptr 0
		.amdhsa_user_sgpr_queue_ptr 0
		.amdhsa_user_sgpr_kernarg_segment_ptr 1
		.amdhsa_user_sgpr_dispatch_id 0
		.amdhsa_user_sgpr_flat_scratch_init 0
		.amdhsa_user_sgpr_private_segment_size 0
		.amdhsa_uses_dynamic_stack 0
		.amdhsa_system_sgpr_private_segment_wavefront_offset 0
		.amdhsa_system_sgpr_workgroup_id_x 1
		.amdhsa_system_sgpr_workgroup_id_y 0
		.amdhsa_system_sgpr_workgroup_id_z 0
		.amdhsa_system_sgpr_workgroup_info 0
		.amdhsa_system_vgpr_workitem_id 0
		.amdhsa_next_free_vgpr 85
		.amdhsa_next_free_sgpr 98
		.amdhsa_reserve_vcc 1
		.amdhsa_reserve_flat_scratch 0
		.amdhsa_float_round_mode_32 0
		.amdhsa_float_round_mode_16_64 0
		.amdhsa_float_denorm_mode_32 3
		.amdhsa_float_denorm_mode_16_64 3
		.amdhsa_dx10_clamp 1
		.amdhsa_ieee_mode 1
		.amdhsa_fp16_overflow 0
		.amdhsa_exception_fp_ieee_invalid_op 0
		.amdhsa_exception_fp_denorm_src 0
		.amdhsa_exception_fp_ieee_div_zero 0
		.amdhsa_exception_fp_ieee_overflow 0
		.amdhsa_exception_fp_ieee_underflow 0
		.amdhsa_exception_fp_ieee_inexact 0
		.amdhsa_exception_int_div_zero 0
	.end_amdhsa_kernel
	.section	.text._Z17warp_store_kernelILj256ELj32ELj32ELN6hipcub18WarpStoreAlgorithmE3EiEvPT3_,"axG",@progbits,_Z17warp_store_kernelILj256ELj32ELj32ELN6hipcub18WarpStoreAlgorithmE3EiEvPT3_,comdat
.Lfunc_end15:
	.size	_Z17warp_store_kernelILj256ELj32ELj32ELN6hipcub18WarpStoreAlgorithmE3EiEvPT3_, .Lfunc_end15-_Z17warp_store_kernelILj256ELj32ELj32ELN6hipcub18WarpStoreAlgorithmE3EiEvPT3_
                                        ; -- End function
	.set _Z17warp_store_kernelILj256ELj32ELj32ELN6hipcub18WarpStoreAlgorithmE3EiEvPT3_.num_vgpr, 35
	.set _Z17warp_store_kernelILj256ELj32ELj32ELN6hipcub18WarpStoreAlgorithmE3EiEvPT3_.num_agpr, 0
	.set _Z17warp_store_kernelILj256ELj32ELj32ELN6hipcub18WarpStoreAlgorithmE3EiEvPT3_.numbered_sgpr, 7
	.set _Z17warp_store_kernelILj256ELj32ELj32ELN6hipcub18WarpStoreAlgorithmE3EiEvPT3_.num_named_barrier, 0
	.set _Z17warp_store_kernelILj256ELj32ELj32ELN6hipcub18WarpStoreAlgorithmE3EiEvPT3_.private_seg_size, 0
	.set _Z17warp_store_kernelILj256ELj32ELj32ELN6hipcub18WarpStoreAlgorithmE3EiEvPT3_.uses_vcc, 1
	.set _Z17warp_store_kernelILj256ELj32ELj32ELN6hipcub18WarpStoreAlgorithmE3EiEvPT3_.uses_flat_scratch, 0
	.set _Z17warp_store_kernelILj256ELj32ELj32ELN6hipcub18WarpStoreAlgorithmE3EiEvPT3_.has_dyn_sized_stack, 0
	.set _Z17warp_store_kernelILj256ELj32ELj32ELN6hipcub18WarpStoreAlgorithmE3EiEvPT3_.has_recursion, 0
	.set _Z17warp_store_kernelILj256ELj32ELj32ELN6hipcub18WarpStoreAlgorithmE3EiEvPT3_.has_indirect_call, 0
	.section	.AMDGPU.csdata,"",@progbits
; Kernel info:
; codeLenInByte = 772
; TotalNumSgprs: 11
; NumVgprs: 35
; ScratchSize: 0
; MemoryBound: 1
; FloatMode: 240
; IeeeMode: 1
; LDSByteSize: 32768 bytes/workgroup (compile time only)
; SGPRBlocks: 12
; VGPRBlocks: 21
; NumSGPRsForWavesPerEU: 102
; NumVGPRsForWavesPerEU: 85
; Occupancy: 2
; WaveLimiterHint : 1
; COMPUTE_PGM_RSRC2:SCRATCH_EN: 0
; COMPUTE_PGM_RSRC2:USER_SGPR: 6
; COMPUTE_PGM_RSRC2:TRAP_HANDLER: 0
; COMPUTE_PGM_RSRC2:TGID_X_EN: 1
; COMPUTE_PGM_RSRC2:TGID_Y_EN: 0
; COMPUTE_PGM_RSRC2:TGID_Z_EN: 0
; COMPUTE_PGM_RSRC2:TIDIG_COMP_CNT: 0
	.section	.text._Z17warp_store_kernelILj256ELj64ELj32ELN6hipcub18WarpStoreAlgorithmE0EiEvPT3_,"axG",@progbits,_Z17warp_store_kernelILj256ELj64ELj32ELN6hipcub18WarpStoreAlgorithmE0EiEvPT3_,comdat
	.protected	_Z17warp_store_kernelILj256ELj64ELj32ELN6hipcub18WarpStoreAlgorithmE0EiEvPT3_ ; -- Begin function _Z17warp_store_kernelILj256ELj64ELj32ELN6hipcub18WarpStoreAlgorithmE0EiEvPT3_
	.globl	_Z17warp_store_kernelILj256ELj64ELj32ELN6hipcub18WarpStoreAlgorithmE0EiEvPT3_
	.p2align	8
	.type	_Z17warp_store_kernelILj256ELj64ELj32ELN6hipcub18WarpStoreAlgorithmE0EiEvPT3_,@function
_Z17warp_store_kernelILj256ELj64ELj32ELN6hipcub18WarpStoreAlgorithmE0EiEvPT3_: ; @_Z17warp_store_kernelILj256ELj64ELj32ELN6hipcub18WarpStoreAlgorithmE0EiEvPT3_
; %bb.0:
	s_load_dwordx2 s[0:1], s[4:5], 0x0
	v_lshlrev_b32_e32 v0, 6, v0
	v_and_b32_e32 v0, 0x3800, v0
	v_mbcnt_lo_u32_b32 v1, -1, 0
	v_lshl_or_b32 v3, s6, 14, v0
	v_mov_b32_e32 v4, 0
	v_mbcnt_hi_u32_b32 v2, -1, v1
	v_lshlrev_b64 v[0:1], 2, v[3:4]
	s_waitcnt lgkmcnt(0)
	v_mov_b32_e32 v3, s1
	v_add_co_u32_e32 v0, vcc, s0, v0
	v_lshlrev_b32_e32 v2, 8, v2
	v_addc_co_u32_e32 v1, vcc, v3, v1, vcc
	v_and_b32_e32 v2, 0x1f00, v2
	v_add_co_u32_e32 v5, vcc, v0, v2
	v_addc_co_u32_e32 v6, vcc, 0, v1, vcc
	v_mov_b32_e32 v1, 1
	v_mov_b32_e32 v2, 2
	;; [unrolled: 1-line block ×4, first 2 shown]
	global_store_dwordx4 v[5:6], v[0:3], off
	s_nop 0
	v_mov_b32_e32 v0, 4
	v_mov_b32_e32 v1, 5
	v_mov_b32_e32 v2, 6
	v_mov_b32_e32 v3, 7
	global_store_dwordx4 v[5:6], v[0:3], off offset:16
	s_nop 0
	v_mov_b32_e32 v0, 8
	v_mov_b32_e32 v1, 9
	v_mov_b32_e32 v2, 10
	v_mov_b32_e32 v3, 11
	global_store_dwordx4 v[5:6], v[0:3], off offset:32
	s_nop 0
	v_mov_b32_e32 v0, 12
	v_mov_b32_e32 v1, 13
	v_mov_b32_e32 v2, 14
	v_mov_b32_e32 v3, 15
	global_store_dwordx4 v[5:6], v[0:3], off offset:48
	s_nop 0
	v_mov_b32_e32 v0, 16
	v_mov_b32_e32 v1, 17
	v_mov_b32_e32 v2, 18
	v_mov_b32_e32 v3, 19
	global_store_dwordx4 v[5:6], v[0:3], off offset:64
	s_nop 0
	v_mov_b32_e32 v0, 20
	v_mov_b32_e32 v1, 21
	v_mov_b32_e32 v2, 22
	v_mov_b32_e32 v3, 23
	global_store_dwordx4 v[5:6], v[0:3], off offset:80
	s_nop 0
	v_mov_b32_e32 v0, 24
	v_mov_b32_e32 v1, 25
	v_mov_b32_e32 v2, 26
	v_mov_b32_e32 v3, 27
	global_store_dwordx4 v[5:6], v[0:3], off offset:96
	s_nop 0
	v_mov_b32_e32 v0, 28
	v_mov_b32_e32 v1, 29
	v_mov_b32_e32 v2, 30
	v_mov_b32_e32 v3, 31
	global_store_dwordx4 v[5:6], v[0:3], off offset:112
	s_nop 0
	v_mov_b32_e32 v0, 32
	v_mov_b32_e32 v1, 33
	v_mov_b32_e32 v2, 34
	v_mov_b32_e32 v3, 35
	global_store_dwordx4 v[5:6], v[0:3], off offset:128
	s_nop 0
	v_mov_b32_e32 v0, 36
	v_mov_b32_e32 v1, 37
	v_mov_b32_e32 v2, 38
	v_mov_b32_e32 v3, 39
	global_store_dwordx4 v[5:6], v[0:3], off offset:144
	s_nop 0
	v_mov_b32_e32 v0, 40
	v_mov_b32_e32 v1, 41
	v_mov_b32_e32 v2, 42
	v_mov_b32_e32 v3, 43
	global_store_dwordx4 v[5:6], v[0:3], off offset:160
	s_nop 0
	v_mov_b32_e32 v0, 44
	v_mov_b32_e32 v1, 45
	v_mov_b32_e32 v2, 46
	v_mov_b32_e32 v3, 47
	global_store_dwordx4 v[5:6], v[0:3], off offset:176
	s_nop 0
	v_mov_b32_e32 v0, 48
	v_mov_b32_e32 v1, 49
	v_mov_b32_e32 v2, 50
	v_mov_b32_e32 v3, 51
	global_store_dwordx4 v[5:6], v[0:3], off offset:192
	s_nop 0
	v_mov_b32_e32 v0, 52
	v_mov_b32_e32 v1, 53
	v_mov_b32_e32 v2, 54
	v_mov_b32_e32 v3, 55
	global_store_dwordx4 v[5:6], v[0:3], off offset:208
	s_nop 0
	v_mov_b32_e32 v0, 56
	v_mov_b32_e32 v1, 57
	v_mov_b32_e32 v2, 58
	v_mov_b32_e32 v3, 59
	global_store_dwordx4 v[5:6], v[0:3], off offset:224
	s_nop 0
	v_mov_b32_e32 v0, 60
	v_mov_b32_e32 v1, 61
	v_mov_b32_e32 v2, 62
	v_mov_b32_e32 v3, 63
	global_store_dwordx4 v[5:6], v[0:3], off offset:240
	s_endpgm
	.section	.rodata,"a",@progbits
	.p2align	6, 0x0
	.amdhsa_kernel _Z17warp_store_kernelILj256ELj64ELj32ELN6hipcub18WarpStoreAlgorithmE0EiEvPT3_
		.amdhsa_group_segment_fixed_size 0
		.amdhsa_private_segment_fixed_size 0
		.amdhsa_kernarg_size 8
		.amdhsa_user_sgpr_count 6
		.amdhsa_user_sgpr_private_segment_buffer 1
		.amdhsa_user_sgpr_dispatch_ptr 0
		.amdhsa_user_sgpr_queue_ptr 0
		.amdhsa_user_sgpr_kernarg_segment_ptr 1
		.amdhsa_user_sgpr_dispatch_id 0
		.amdhsa_user_sgpr_flat_scratch_init 0
		.amdhsa_user_sgpr_private_segment_size 0
		.amdhsa_uses_dynamic_stack 0
		.amdhsa_system_sgpr_private_segment_wavefront_offset 0
		.amdhsa_system_sgpr_workgroup_id_x 1
		.amdhsa_system_sgpr_workgroup_id_y 0
		.amdhsa_system_sgpr_workgroup_id_z 0
		.amdhsa_system_sgpr_workgroup_info 0
		.amdhsa_system_vgpr_workitem_id 0
		.amdhsa_next_free_vgpr 7
		.amdhsa_next_free_sgpr 7
		.amdhsa_reserve_vcc 1
		.amdhsa_reserve_flat_scratch 0
		.amdhsa_float_round_mode_32 0
		.amdhsa_float_round_mode_16_64 0
		.amdhsa_float_denorm_mode_32 3
		.amdhsa_float_denorm_mode_16_64 3
		.amdhsa_dx10_clamp 1
		.amdhsa_ieee_mode 1
		.amdhsa_fp16_overflow 0
		.amdhsa_exception_fp_ieee_invalid_op 0
		.amdhsa_exception_fp_denorm_src 0
		.amdhsa_exception_fp_ieee_div_zero 0
		.amdhsa_exception_fp_ieee_overflow 0
		.amdhsa_exception_fp_ieee_underflow 0
		.amdhsa_exception_fp_ieee_inexact 0
		.amdhsa_exception_int_div_zero 0
	.end_amdhsa_kernel
	.section	.text._Z17warp_store_kernelILj256ELj64ELj32ELN6hipcub18WarpStoreAlgorithmE0EiEvPT3_,"axG",@progbits,_Z17warp_store_kernelILj256ELj64ELj32ELN6hipcub18WarpStoreAlgorithmE0EiEvPT3_,comdat
.Lfunc_end16:
	.size	_Z17warp_store_kernelILj256ELj64ELj32ELN6hipcub18WarpStoreAlgorithmE0EiEvPT3_, .Lfunc_end16-_Z17warp_store_kernelILj256ELj64ELj32ELN6hipcub18WarpStoreAlgorithmE0EiEvPT3_
                                        ; -- End function
	.set _Z17warp_store_kernelILj256ELj64ELj32ELN6hipcub18WarpStoreAlgorithmE0EiEvPT3_.num_vgpr, 7
	.set _Z17warp_store_kernelILj256ELj64ELj32ELN6hipcub18WarpStoreAlgorithmE0EiEvPT3_.num_agpr, 0
	.set _Z17warp_store_kernelILj256ELj64ELj32ELN6hipcub18WarpStoreAlgorithmE0EiEvPT3_.numbered_sgpr, 7
	.set _Z17warp_store_kernelILj256ELj64ELj32ELN6hipcub18WarpStoreAlgorithmE0EiEvPT3_.num_named_barrier, 0
	.set _Z17warp_store_kernelILj256ELj64ELj32ELN6hipcub18WarpStoreAlgorithmE0EiEvPT3_.private_seg_size, 0
	.set _Z17warp_store_kernelILj256ELj64ELj32ELN6hipcub18WarpStoreAlgorithmE0EiEvPT3_.uses_vcc, 1
	.set _Z17warp_store_kernelILj256ELj64ELj32ELN6hipcub18WarpStoreAlgorithmE0EiEvPT3_.uses_flat_scratch, 0
	.set _Z17warp_store_kernelILj256ELj64ELj32ELN6hipcub18WarpStoreAlgorithmE0EiEvPT3_.has_dyn_sized_stack, 0
	.set _Z17warp_store_kernelILj256ELj64ELj32ELN6hipcub18WarpStoreAlgorithmE0EiEvPT3_.has_recursion, 0
	.set _Z17warp_store_kernelILj256ELj64ELj32ELN6hipcub18WarpStoreAlgorithmE0EiEvPT3_.has_indirect_call, 0
	.section	.AMDGPU.csdata,"",@progbits
; Kernel info:
; codeLenInByte = 540
; TotalNumSgprs: 11
; NumVgprs: 7
; ScratchSize: 0
; MemoryBound: 1
; FloatMode: 240
; IeeeMode: 1
; LDSByteSize: 0 bytes/workgroup (compile time only)
; SGPRBlocks: 1
; VGPRBlocks: 1
; NumSGPRsForWavesPerEU: 11
; NumVGPRsForWavesPerEU: 7
; Occupancy: 10
; WaveLimiterHint : 1
; COMPUTE_PGM_RSRC2:SCRATCH_EN: 0
; COMPUTE_PGM_RSRC2:USER_SGPR: 6
; COMPUTE_PGM_RSRC2:TRAP_HANDLER: 0
; COMPUTE_PGM_RSRC2:TGID_X_EN: 1
; COMPUTE_PGM_RSRC2:TGID_Y_EN: 0
; COMPUTE_PGM_RSRC2:TGID_Z_EN: 0
; COMPUTE_PGM_RSRC2:TIDIG_COMP_CNT: 0
	.section	.text._Z17warp_store_kernelILj256ELj64ELj32ELN6hipcub18WarpStoreAlgorithmE1EiEvPT3_,"axG",@progbits,_Z17warp_store_kernelILj256ELj64ELj32ELN6hipcub18WarpStoreAlgorithmE1EiEvPT3_,comdat
	.protected	_Z17warp_store_kernelILj256ELj64ELj32ELN6hipcub18WarpStoreAlgorithmE1EiEvPT3_ ; -- Begin function _Z17warp_store_kernelILj256ELj64ELj32ELN6hipcub18WarpStoreAlgorithmE1EiEvPT3_
	.globl	_Z17warp_store_kernelILj256ELj64ELj32ELN6hipcub18WarpStoreAlgorithmE1EiEvPT3_
	.p2align	8
	.type	_Z17warp_store_kernelILj256ELj64ELj32ELN6hipcub18WarpStoreAlgorithmE1EiEvPT3_,@function
_Z17warp_store_kernelILj256ELj64ELj32ELN6hipcub18WarpStoreAlgorithmE1EiEvPT3_: ; @_Z17warp_store_kernelILj256ELj64ELj32ELN6hipcub18WarpStoreAlgorithmE1EiEvPT3_
; %bb.0:
	s_load_dwordx2 s[0:1], s[4:5], 0x0
	v_lshlrev_b32_e32 v0, 6, v0
	v_mbcnt_lo_u32_b32 v2, -1, 0
	v_and_b32_e32 v0, 0x3800, v0
	v_mov_b32_e32 v1, 0
	v_mbcnt_hi_u32_b32 v2, -1, v2
	v_lshl_or_b32 v0, s6, 14, v0
	v_and_b32_e32 v5, 31, v2
	v_lshlrev_b64 v[2:3], 2, v[0:1]
	s_waitcnt lgkmcnt(0)
	v_mov_b32_e32 v0, s1
	v_add_co_u32_e32 v2, vcc, s0, v2
	v_addc_co_u32_e32 v0, vcc, v0, v3, vcc
	v_lshlrev_b32_e32 v3, 2, v5
	v_add_co_u32_e32 v2, vcc, v2, v3
	v_addc_co_u32_e32 v3, vcc, 0, v0, vcc
	v_mov_b32_e32 v0, 1
	v_mov_b32_e32 v8, 2
	global_store_dword v[2:3], v1, off
	global_store_dword v[2:3], v0, off offset:128
	global_store_dword v[2:3], v8, off offset:256
	v_mov_b32_e32 v0, 3
	global_store_dword v[2:3], v0, off offset:384
	v_mov_b32_e32 v0, 4
	;; [unrolled: 2-line block ×3, first 2 shown]
	v_mov_b32_e32 v6, 6
	global_store_dword v[2:3], v0, off offset:640
	global_store_dword v[2:3], v6, off offset:768
	v_mov_b32_e32 v0, 7
	global_store_dword v[2:3], v0, off offset:896
	v_mov_b32_e32 v0, 8
	;; [unrolled: 2-line block ×7, first 2 shown]
	v_mov_b32_e32 v7, 14
	global_store_dword v[2:3], v0, off offset:1664
	global_store_dword v[2:3], v7, off offset:1792
	v_mov_b32_e32 v0, 15
	global_store_dword v[2:3], v0, off offset:1920
	v_mov_b32_e32 v0, 16
	global_store_dword v[2:3], v0, off offset:2048
	v_mov_b32_e32 v0, 17
	global_store_dword v[2:3], v0, off offset:2176
	v_mov_b32_e32 v0, 18
	global_store_dword v[2:3], v0, off offset:2304
	v_mov_b32_e32 v0, 19
	global_store_dword v[2:3], v0, off offset:2432
	v_mov_b32_e32 v0, 20
	global_store_dword v[2:3], v0, off offset:2560
	v_mov_b32_e32 v0, 21
	global_store_dword v[2:3], v0, off offset:2688
	v_mov_b32_e32 v0, 22
	global_store_dword v[2:3], v0, off offset:2816
	v_mov_b32_e32 v0, 23
	global_store_dword v[2:3], v0, off offset:2944
	v_mov_b32_e32 v0, 24
	global_store_dword v[2:3], v0, off offset:3072
	v_mov_b32_e32 v0, 25
	global_store_dword v[2:3], v0, off offset:3200
	v_mov_b32_e32 v0, 26
	global_store_dword v[2:3], v0, off offset:3328
	v_mov_b32_e32 v0, 27
	global_store_dword v[2:3], v0, off offset:3456
	v_mov_b32_e32 v0, 28
	global_store_dword v[2:3], v0, off offset:3584
	v_mov_b32_e32 v0, 29
	global_store_dword v[2:3], v0, off offset:3712
	v_mov_b32_e32 v0, 30
	s_movk_i32 s0, 0x1000
	v_mov_b32_e32 v4, 31
	global_store_dword v[2:3], v0, off offset:3840
	global_store_dword v[2:3], v4, off offset:3968
	v_add_co_u32_e32 v0, vcc, s0, v2
	v_addc_co_u32_e32 v1, vcc, 0, v3, vcc
	v_mov_b32_e32 v2, 32
	global_store_dword v[0:1], v2, off
	v_mov_b32_e32 v2, 33
	global_store_dword v[0:1], v2, off offset:128
	v_mov_b32_e32 v2, 34
	global_store_dword v[0:1], v2, off offset:256
	;; [unrolled: 2-line block ×31, first 2 shown]
	s_endpgm
	.section	.rodata,"a",@progbits
	.p2align	6, 0x0
	.amdhsa_kernel _Z17warp_store_kernelILj256ELj64ELj32ELN6hipcub18WarpStoreAlgorithmE1EiEvPT3_
		.amdhsa_group_segment_fixed_size 0
		.amdhsa_private_segment_fixed_size 0
		.amdhsa_kernarg_size 8
		.amdhsa_user_sgpr_count 6
		.amdhsa_user_sgpr_private_segment_buffer 1
		.amdhsa_user_sgpr_dispatch_ptr 0
		.amdhsa_user_sgpr_queue_ptr 0
		.amdhsa_user_sgpr_kernarg_segment_ptr 1
		.amdhsa_user_sgpr_dispatch_id 0
		.amdhsa_user_sgpr_flat_scratch_init 0
		.amdhsa_user_sgpr_private_segment_size 0
		.amdhsa_uses_dynamic_stack 0
		.amdhsa_system_sgpr_private_segment_wavefront_offset 0
		.amdhsa_system_sgpr_workgroup_id_x 1
		.amdhsa_system_sgpr_workgroup_id_y 0
		.amdhsa_system_sgpr_workgroup_id_z 0
		.amdhsa_system_sgpr_workgroup_info 0
		.amdhsa_system_vgpr_workitem_id 0
		.amdhsa_next_free_vgpr 9
		.amdhsa_next_free_sgpr 7
		.amdhsa_reserve_vcc 1
		.amdhsa_reserve_flat_scratch 0
		.amdhsa_float_round_mode_32 0
		.amdhsa_float_round_mode_16_64 0
		.amdhsa_float_denorm_mode_32 3
		.amdhsa_float_denorm_mode_16_64 3
		.amdhsa_dx10_clamp 1
		.amdhsa_ieee_mode 1
		.amdhsa_fp16_overflow 0
		.amdhsa_exception_fp_ieee_invalid_op 0
		.amdhsa_exception_fp_denorm_src 0
		.amdhsa_exception_fp_ieee_div_zero 0
		.amdhsa_exception_fp_ieee_overflow 0
		.amdhsa_exception_fp_ieee_underflow 0
		.amdhsa_exception_fp_ieee_inexact 0
		.amdhsa_exception_int_div_zero 0
	.end_amdhsa_kernel
	.section	.text._Z17warp_store_kernelILj256ELj64ELj32ELN6hipcub18WarpStoreAlgorithmE1EiEvPT3_,"axG",@progbits,_Z17warp_store_kernelILj256ELj64ELj32ELN6hipcub18WarpStoreAlgorithmE1EiEvPT3_,comdat
.Lfunc_end17:
	.size	_Z17warp_store_kernelILj256ELj64ELj32ELN6hipcub18WarpStoreAlgorithmE1EiEvPT3_, .Lfunc_end17-_Z17warp_store_kernelILj256ELj64ELj32ELN6hipcub18WarpStoreAlgorithmE1EiEvPT3_
                                        ; -- End function
	.set _Z17warp_store_kernelILj256ELj64ELj32ELN6hipcub18WarpStoreAlgorithmE1EiEvPT3_.num_vgpr, 9
	.set _Z17warp_store_kernelILj256ELj64ELj32ELN6hipcub18WarpStoreAlgorithmE1EiEvPT3_.num_agpr, 0
	.set _Z17warp_store_kernelILj256ELj64ELj32ELN6hipcub18WarpStoreAlgorithmE1EiEvPT3_.numbered_sgpr, 7
	.set _Z17warp_store_kernelILj256ELj64ELj32ELN6hipcub18WarpStoreAlgorithmE1EiEvPT3_.num_named_barrier, 0
	.set _Z17warp_store_kernelILj256ELj64ELj32ELN6hipcub18WarpStoreAlgorithmE1EiEvPT3_.private_seg_size, 0
	.set _Z17warp_store_kernelILj256ELj64ELj32ELN6hipcub18WarpStoreAlgorithmE1EiEvPT3_.uses_vcc, 1
	.set _Z17warp_store_kernelILj256ELj64ELj32ELN6hipcub18WarpStoreAlgorithmE1EiEvPT3_.uses_flat_scratch, 0
	.set _Z17warp_store_kernelILj256ELj64ELj32ELN6hipcub18WarpStoreAlgorithmE1EiEvPT3_.has_dyn_sized_stack, 0
	.set _Z17warp_store_kernelILj256ELj64ELj32ELN6hipcub18WarpStoreAlgorithmE1EiEvPT3_.has_recursion, 0
	.set _Z17warp_store_kernelILj256ELj64ELj32ELN6hipcub18WarpStoreAlgorithmE1EiEvPT3_.has_indirect_call, 0
	.section	.AMDGPU.csdata,"",@progbits
; Kernel info:
; codeLenInByte = 868
; TotalNumSgprs: 11
; NumVgprs: 9
; ScratchSize: 0
; MemoryBound: 1
; FloatMode: 240
; IeeeMode: 1
; LDSByteSize: 0 bytes/workgroup (compile time only)
; SGPRBlocks: 1
; VGPRBlocks: 2
; NumSGPRsForWavesPerEU: 11
; NumVGPRsForWavesPerEU: 9
; Occupancy: 10
; WaveLimiterHint : 1
; COMPUTE_PGM_RSRC2:SCRATCH_EN: 0
; COMPUTE_PGM_RSRC2:USER_SGPR: 6
; COMPUTE_PGM_RSRC2:TRAP_HANDLER: 0
; COMPUTE_PGM_RSRC2:TGID_X_EN: 1
; COMPUTE_PGM_RSRC2:TGID_Y_EN: 0
; COMPUTE_PGM_RSRC2:TGID_Z_EN: 0
; COMPUTE_PGM_RSRC2:TIDIG_COMP_CNT: 0
	.section	.text._Z17warp_store_kernelILj256ELj64ELj32ELN6hipcub18WarpStoreAlgorithmE2EiEvPT3_,"axG",@progbits,_Z17warp_store_kernelILj256ELj64ELj32ELN6hipcub18WarpStoreAlgorithmE2EiEvPT3_,comdat
	.protected	_Z17warp_store_kernelILj256ELj64ELj32ELN6hipcub18WarpStoreAlgorithmE2EiEvPT3_ ; -- Begin function _Z17warp_store_kernelILj256ELj64ELj32ELN6hipcub18WarpStoreAlgorithmE2EiEvPT3_
	.globl	_Z17warp_store_kernelILj256ELj64ELj32ELN6hipcub18WarpStoreAlgorithmE2EiEvPT3_
	.p2align	8
	.type	_Z17warp_store_kernelILj256ELj64ELj32ELN6hipcub18WarpStoreAlgorithmE2EiEvPT3_,@function
_Z17warp_store_kernelILj256ELj64ELj32ELN6hipcub18WarpStoreAlgorithmE2EiEvPT3_: ; @_Z17warp_store_kernelILj256ELj64ELj32ELN6hipcub18WarpStoreAlgorithmE2EiEvPT3_
; %bb.0:
	s_load_dwordx2 s[0:1], s[4:5], 0x0
	v_lshlrev_b32_e32 v0, 6, v0
	v_and_b32_e32 v0, 0x3800, v0
	v_mbcnt_lo_u32_b32 v1, -1, 0
	v_lshl_or_b32 v3, s6, 14, v0
	v_mov_b32_e32 v4, 0
	v_mbcnt_hi_u32_b32 v2, -1, v1
	v_lshlrev_b64 v[0:1], 2, v[3:4]
	s_waitcnt lgkmcnt(0)
	v_mov_b32_e32 v3, s1
	v_add_co_u32_e32 v0, vcc, s0, v0
	v_lshlrev_b32_e32 v2, 8, v2
	v_addc_co_u32_e32 v1, vcc, v3, v1, vcc
	v_and_b32_e32 v2, 0x1f00, v2
	v_add_co_u32_e32 v5, vcc, v0, v2
	v_addc_co_u32_e32 v6, vcc, 0, v1, vcc
	v_mov_b32_e32 v1, 1
	v_mov_b32_e32 v2, 2
	;; [unrolled: 1-line block ×4, first 2 shown]
	global_store_dwordx4 v[5:6], v[0:3], off
	s_nop 0
	v_mov_b32_e32 v0, 4
	v_mov_b32_e32 v1, 5
	v_mov_b32_e32 v2, 6
	v_mov_b32_e32 v3, 7
	global_store_dwordx4 v[5:6], v[0:3], off offset:16
	s_nop 0
	v_mov_b32_e32 v0, 8
	v_mov_b32_e32 v1, 9
	v_mov_b32_e32 v2, 10
	v_mov_b32_e32 v3, 11
	global_store_dwordx4 v[5:6], v[0:3], off offset:32
	;; [unrolled: 6-line block ×15, first 2 shown]
	s_endpgm
	.section	.rodata,"a",@progbits
	.p2align	6, 0x0
	.amdhsa_kernel _Z17warp_store_kernelILj256ELj64ELj32ELN6hipcub18WarpStoreAlgorithmE2EiEvPT3_
		.amdhsa_group_segment_fixed_size 0
		.amdhsa_private_segment_fixed_size 0
		.amdhsa_kernarg_size 8
		.amdhsa_user_sgpr_count 6
		.amdhsa_user_sgpr_private_segment_buffer 1
		.amdhsa_user_sgpr_dispatch_ptr 0
		.amdhsa_user_sgpr_queue_ptr 0
		.amdhsa_user_sgpr_kernarg_segment_ptr 1
		.amdhsa_user_sgpr_dispatch_id 0
		.amdhsa_user_sgpr_flat_scratch_init 0
		.amdhsa_user_sgpr_private_segment_size 0
		.amdhsa_uses_dynamic_stack 0
		.amdhsa_system_sgpr_private_segment_wavefront_offset 0
		.amdhsa_system_sgpr_workgroup_id_x 1
		.amdhsa_system_sgpr_workgroup_id_y 0
		.amdhsa_system_sgpr_workgroup_id_z 0
		.amdhsa_system_sgpr_workgroup_info 0
		.amdhsa_system_vgpr_workitem_id 0
		.amdhsa_next_free_vgpr 7
		.amdhsa_next_free_sgpr 7
		.amdhsa_reserve_vcc 1
		.amdhsa_reserve_flat_scratch 0
		.amdhsa_float_round_mode_32 0
		.amdhsa_float_round_mode_16_64 0
		.amdhsa_float_denorm_mode_32 3
		.amdhsa_float_denorm_mode_16_64 3
		.amdhsa_dx10_clamp 1
		.amdhsa_ieee_mode 1
		.amdhsa_fp16_overflow 0
		.amdhsa_exception_fp_ieee_invalid_op 0
		.amdhsa_exception_fp_denorm_src 0
		.amdhsa_exception_fp_ieee_div_zero 0
		.amdhsa_exception_fp_ieee_overflow 0
		.amdhsa_exception_fp_ieee_underflow 0
		.amdhsa_exception_fp_ieee_inexact 0
		.amdhsa_exception_int_div_zero 0
	.end_amdhsa_kernel
	.section	.text._Z17warp_store_kernelILj256ELj64ELj32ELN6hipcub18WarpStoreAlgorithmE2EiEvPT3_,"axG",@progbits,_Z17warp_store_kernelILj256ELj64ELj32ELN6hipcub18WarpStoreAlgorithmE2EiEvPT3_,comdat
.Lfunc_end18:
	.size	_Z17warp_store_kernelILj256ELj64ELj32ELN6hipcub18WarpStoreAlgorithmE2EiEvPT3_, .Lfunc_end18-_Z17warp_store_kernelILj256ELj64ELj32ELN6hipcub18WarpStoreAlgorithmE2EiEvPT3_
                                        ; -- End function
	.set _Z17warp_store_kernelILj256ELj64ELj32ELN6hipcub18WarpStoreAlgorithmE2EiEvPT3_.num_vgpr, 7
	.set _Z17warp_store_kernelILj256ELj64ELj32ELN6hipcub18WarpStoreAlgorithmE2EiEvPT3_.num_agpr, 0
	.set _Z17warp_store_kernelILj256ELj64ELj32ELN6hipcub18WarpStoreAlgorithmE2EiEvPT3_.numbered_sgpr, 7
	.set _Z17warp_store_kernelILj256ELj64ELj32ELN6hipcub18WarpStoreAlgorithmE2EiEvPT3_.num_named_barrier, 0
	.set _Z17warp_store_kernelILj256ELj64ELj32ELN6hipcub18WarpStoreAlgorithmE2EiEvPT3_.private_seg_size, 0
	.set _Z17warp_store_kernelILj256ELj64ELj32ELN6hipcub18WarpStoreAlgorithmE2EiEvPT3_.uses_vcc, 1
	.set _Z17warp_store_kernelILj256ELj64ELj32ELN6hipcub18WarpStoreAlgorithmE2EiEvPT3_.uses_flat_scratch, 0
	.set _Z17warp_store_kernelILj256ELj64ELj32ELN6hipcub18WarpStoreAlgorithmE2EiEvPT3_.has_dyn_sized_stack, 0
	.set _Z17warp_store_kernelILj256ELj64ELj32ELN6hipcub18WarpStoreAlgorithmE2EiEvPT3_.has_recursion, 0
	.set _Z17warp_store_kernelILj256ELj64ELj32ELN6hipcub18WarpStoreAlgorithmE2EiEvPT3_.has_indirect_call, 0
	.section	.AMDGPU.csdata,"",@progbits
; Kernel info:
; codeLenInByte = 540
; TotalNumSgprs: 11
; NumVgprs: 7
; ScratchSize: 0
; MemoryBound: 1
; FloatMode: 240
; IeeeMode: 1
; LDSByteSize: 0 bytes/workgroup (compile time only)
; SGPRBlocks: 1
; VGPRBlocks: 1
; NumSGPRsForWavesPerEU: 11
; NumVGPRsForWavesPerEU: 7
; Occupancy: 10
; WaveLimiterHint : 1
; COMPUTE_PGM_RSRC2:SCRATCH_EN: 0
; COMPUTE_PGM_RSRC2:USER_SGPR: 6
; COMPUTE_PGM_RSRC2:TRAP_HANDLER: 0
; COMPUTE_PGM_RSRC2:TGID_X_EN: 1
; COMPUTE_PGM_RSRC2:TGID_Y_EN: 0
; COMPUTE_PGM_RSRC2:TGID_Z_EN: 0
; COMPUTE_PGM_RSRC2:TIDIG_COMP_CNT: 0
	.section	.text._Z17warp_store_kernelILj256ELj4ELj32ELN6hipcub18WarpStoreAlgorithmE0EdEvPT3_,"axG",@progbits,_Z17warp_store_kernelILj256ELj4ELj32ELN6hipcub18WarpStoreAlgorithmE0EdEvPT3_,comdat
	.protected	_Z17warp_store_kernelILj256ELj4ELj32ELN6hipcub18WarpStoreAlgorithmE0EdEvPT3_ ; -- Begin function _Z17warp_store_kernelILj256ELj4ELj32ELN6hipcub18WarpStoreAlgorithmE0EdEvPT3_
	.globl	_Z17warp_store_kernelILj256ELj4ELj32ELN6hipcub18WarpStoreAlgorithmE0EdEvPT3_
	.p2align	8
	.type	_Z17warp_store_kernelILj256ELj4ELj32ELN6hipcub18WarpStoreAlgorithmE0EdEvPT3_,@function
_Z17warp_store_kernelILj256ELj4ELj32ELN6hipcub18WarpStoreAlgorithmE0EdEvPT3_: ; @_Z17warp_store_kernelILj256ELj4ELj32ELN6hipcub18WarpStoreAlgorithmE0EdEvPT3_
; %bb.0:
	s_load_dwordx2 s[0:1], s[4:5], 0x0
	v_lshlrev_b32_e32 v0, 2, v0
	v_mbcnt_lo_u32_b32 v1, -1, 0
	v_and_b32_e32 v0, 0x380, v0
	v_mbcnt_hi_u32_b32 v4, -1, v1
	v_lshl_or_b32 v0, s6, 10, v0
	v_mov_b32_e32 v1, 0
	v_lshlrev_b64 v[2:3], 3, v[0:1]
	s_waitcnt lgkmcnt(0)
	v_mov_b32_e32 v0, s1
	v_add_co_u32_e32 v2, vcc, s0, v2
	v_addc_co_u32_e32 v0, vcc, v0, v3, vcc
	v_lshlrev_b32_e32 v3, 5, v4
	v_and_b32_e32 v3, 0x3e0, v3
	v_add_co_u32_e32 v6, vcc, v2, v3
	v_addc_co_u32_e32 v7, vcc, 0, v0, vcc
	v_mov_b32_e32 v3, 0x3ff00000
	v_mov_b32_e32 v0, v1
	;; [unrolled: 1-line block ×3, first 2 shown]
	global_store_dwordx4 v[6:7], v[0:3], off
	v_mov_b32_e32 v5, 0x40080000
	v_mov_b32_e32 v3, 2.0
	v_mov_b32_e32 v4, v1
	global_store_dwordx4 v[6:7], v[2:5], off offset:16
	s_endpgm
	.section	.rodata,"a",@progbits
	.p2align	6, 0x0
	.amdhsa_kernel _Z17warp_store_kernelILj256ELj4ELj32ELN6hipcub18WarpStoreAlgorithmE0EdEvPT3_
		.amdhsa_group_segment_fixed_size 0
		.amdhsa_private_segment_fixed_size 0
		.amdhsa_kernarg_size 8
		.amdhsa_user_sgpr_count 6
		.amdhsa_user_sgpr_private_segment_buffer 1
		.amdhsa_user_sgpr_dispatch_ptr 0
		.amdhsa_user_sgpr_queue_ptr 0
		.amdhsa_user_sgpr_kernarg_segment_ptr 1
		.amdhsa_user_sgpr_dispatch_id 0
		.amdhsa_user_sgpr_flat_scratch_init 0
		.amdhsa_user_sgpr_private_segment_size 0
		.amdhsa_uses_dynamic_stack 0
		.amdhsa_system_sgpr_private_segment_wavefront_offset 0
		.amdhsa_system_sgpr_workgroup_id_x 1
		.amdhsa_system_sgpr_workgroup_id_y 0
		.amdhsa_system_sgpr_workgroup_id_z 0
		.amdhsa_system_sgpr_workgroup_info 0
		.amdhsa_system_vgpr_workitem_id 0
		.amdhsa_next_free_vgpr 8
		.amdhsa_next_free_sgpr 7
		.amdhsa_reserve_vcc 1
		.amdhsa_reserve_flat_scratch 0
		.amdhsa_float_round_mode_32 0
		.amdhsa_float_round_mode_16_64 0
		.amdhsa_float_denorm_mode_32 3
		.amdhsa_float_denorm_mode_16_64 3
		.amdhsa_dx10_clamp 1
		.amdhsa_ieee_mode 1
		.amdhsa_fp16_overflow 0
		.amdhsa_exception_fp_ieee_invalid_op 0
		.amdhsa_exception_fp_denorm_src 0
		.amdhsa_exception_fp_ieee_div_zero 0
		.amdhsa_exception_fp_ieee_overflow 0
		.amdhsa_exception_fp_ieee_underflow 0
		.amdhsa_exception_fp_ieee_inexact 0
		.amdhsa_exception_int_div_zero 0
	.end_amdhsa_kernel
	.section	.text._Z17warp_store_kernelILj256ELj4ELj32ELN6hipcub18WarpStoreAlgorithmE0EdEvPT3_,"axG",@progbits,_Z17warp_store_kernelILj256ELj4ELj32ELN6hipcub18WarpStoreAlgorithmE0EdEvPT3_,comdat
.Lfunc_end19:
	.size	_Z17warp_store_kernelILj256ELj4ELj32ELN6hipcub18WarpStoreAlgorithmE0EdEvPT3_, .Lfunc_end19-_Z17warp_store_kernelILj256ELj4ELj32ELN6hipcub18WarpStoreAlgorithmE0EdEvPT3_
                                        ; -- End function
	.set _Z17warp_store_kernelILj256ELj4ELj32ELN6hipcub18WarpStoreAlgorithmE0EdEvPT3_.num_vgpr, 8
	.set _Z17warp_store_kernelILj256ELj4ELj32ELN6hipcub18WarpStoreAlgorithmE0EdEvPT3_.num_agpr, 0
	.set _Z17warp_store_kernelILj256ELj4ELj32ELN6hipcub18WarpStoreAlgorithmE0EdEvPT3_.numbered_sgpr, 7
	.set _Z17warp_store_kernelILj256ELj4ELj32ELN6hipcub18WarpStoreAlgorithmE0EdEvPT3_.num_named_barrier, 0
	.set _Z17warp_store_kernelILj256ELj4ELj32ELN6hipcub18WarpStoreAlgorithmE0EdEvPT3_.private_seg_size, 0
	.set _Z17warp_store_kernelILj256ELj4ELj32ELN6hipcub18WarpStoreAlgorithmE0EdEvPT3_.uses_vcc, 1
	.set _Z17warp_store_kernelILj256ELj4ELj32ELN6hipcub18WarpStoreAlgorithmE0EdEvPT3_.uses_flat_scratch, 0
	.set _Z17warp_store_kernelILj256ELj4ELj32ELN6hipcub18WarpStoreAlgorithmE0EdEvPT3_.has_dyn_sized_stack, 0
	.set _Z17warp_store_kernelILj256ELj4ELj32ELN6hipcub18WarpStoreAlgorithmE0EdEvPT3_.has_recursion, 0
	.set _Z17warp_store_kernelILj256ELj4ELj32ELN6hipcub18WarpStoreAlgorithmE0EdEvPT3_.has_indirect_call, 0
	.section	.AMDGPU.csdata,"",@progbits
; Kernel info:
; codeLenInByte = 144
; TotalNumSgprs: 11
; NumVgprs: 8
; ScratchSize: 0
; MemoryBound: 0
; FloatMode: 240
; IeeeMode: 1
; LDSByteSize: 0 bytes/workgroup (compile time only)
; SGPRBlocks: 1
; VGPRBlocks: 1
; NumSGPRsForWavesPerEU: 11
; NumVGPRsForWavesPerEU: 8
; Occupancy: 10
; WaveLimiterHint : 0
; COMPUTE_PGM_RSRC2:SCRATCH_EN: 0
; COMPUTE_PGM_RSRC2:USER_SGPR: 6
; COMPUTE_PGM_RSRC2:TRAP_HANDLER: 0
; COMPUTE_PGM_RSRC2:TGID_X_EN: 1
; COMPUTE_PGM_RSRC2:TGID_Y_EN: 0
; COMPUTE_PGM_RSRC2:TGID_Z_EN: 0
; COMPUTE_PGM_RSRC2:TIDIG_COMP_CNT: 0
	.section	.text._Z17warp_store_kernelILj256ELj4ELj32ELN6hipcub18WarpStoreAlgorithmE1EdEvPT3_,"axG",@progbits,_Z17warp_store_kernelILj256ELj4ELj32ELN6hipcub18WarpStoreAlgorithmE1EdEvPT3_,comdat
	.protected	_Z17warp_store_kernelILj256ELj4ELj32ELN6hipcub18WarpStoreAlgorithmE1EdEvPT3_ ; -- Begin function _Z17warp_store_kernelILj256ELj4ELj32ELN6hipcub18WarpStoreAlgorithmE1EdEvPT3_
	.globl	_Z17warp_store_kernelILj256ELj4ELj32ELN6hipcub18WarpStoreAlgorithmE1EdEvPT3_
	.p2align	8
	.type	_Z17warp_store_kernelILj256ELj4ELj32ELN6hipcub18WarpStoreAlgorithmE1EdEvPT3_,@function
_Z17warp_store_kernelILj256ELj4ELj32ELN6hipcub18WarpStoreAlgorithmE1EdEvPT3_: ; @_Z17warp_store_kernelILj256ELj4ELj32ELN6hipcub18WarpStoreAlgorithmE1EdEvPT3_
; %bb.0:
	s_load_dwordx2 s[0:1], s[4:5], 0x0
	v_mbcnt_lo_u32_b32 v1, -1, 0
	v_lshlrev_b32_e32 v0, 2, v0
	v_mbcnt_hi_u32_b32 v1, -1, v1
	v_and_b32_e32 v0, 0x380, v0
	v_and_b32_e32 v4, 31, v1
	v_lshl_or_b32 v0, s6, 10, v0
	v_mov_b32_e32 v1, 0
	v_lshlrev_b64 v[2:3], 3, v[0:1]
	s_waitcnt lgkmcnt(0)
	v_mov_b32_e32 v0, s1
	v_add_co_u32_e32 v2, vcc, s0, v2
	v_addc_co_u32_e32 v0, vcc, v0, v3, vcc
	v_lshlrev_b32_e32 v3, 3, v4
	v_add_co_u32_e32 v2, vcc, v2, v3
	v_addc_co_u32_e32 v3, vcc, 0, v0, vcc
	v_mov_b32_e32 v5, 0x3ff00000
	v_mov_b32_e32 v4, v1
	global_store_dwordx2 v[2:3], v[4:5], off offset:256
	v_mov_b32_e32 v5, 2.0
	v_mov_b32_e32 v0, v1
	global_store_dwordx2 v[2:3], v[4:5], off offset:512
	v_mov_b32_e32 v5, 0x40080000
	global_store_dwordx2 v[2:3], v[0:1], off
	global_store_dwordx2 v[2:3], v[4:5], off offset:768
	s_endpgm
	.section	.rodata,"a",@progbits
	.p2align	6, 0x0
	.amdhsa_kernel _Z17warp_store_kernelILj256ELj4ELj32ELN6hipcub18WarpStoreAlgorithmE1EdEvPT3_
		.amdhsa_group_segment_fixed_size 0
		.amdhsa_private_segment_fixed_size 0
		.amdhsa_kernarg_size 8
		.amdhsa_user_sgpr_count 6
		.amdhsa_user_sgpr_private_segment_buffer 1
		.amdhsa_user_sgpr_dispatch_ptr 0
		.amdhsa_user_sgpr_queue_ptr 0
		.amdhsa_user_sgpr_kernarg_segment_ptr 1
		.amdhsa_user_sgpr_dispatch_id 0
		.amdhsa_user_sgpr_flat_scratch_init 0
		.amdhsa_user_sgpr_private_segment_size 0
		.amdhsa_uses_dynamic_stack 0
		.amdhsa_system_sgpr_private_segment_wavefront_offset 0
		.amdhsa_system_sgpr_workgroup_id_x 1
		.amdhsa_system_sgpr_workgroup_id_y 0
		.amdhsa_system_sgpr_workgroup_id_z 0
		.amdhsa_system_sgpr_workgroup_info 0
		.amdhsa_system_vgpr_workitem_id 0
		.amdhsa_next_free_vgpr 6
		.amdhsa_next_free_sgpr 7
		.amdhsa_reserve_vcc 1
		.amdhsa_reserve_flat_scratch 0
		.amdhsa_float_round_mode_32 0
		.amdhsa_float_round_mode_16_64 0
		.amdhsa_float_denorm_mode_32 3
		.amdhsa_float_denorm_mode_16_64 3
		.amdhsa_dx10_clamp 1
		.amdhsa_ieee_mode 1
		.amdhsa_fp16_overflow 0
		.amdhsa_exception_fp_ieee_invalid_op 0
		.amdhsa_exception_fp_denorm_src 0
		.amdhsa_exception_fp_ieee_div_zero 0
		.amdhsa_exception_fp_ieee_overflow 0
		.amdhsa_exception_fp_ieee_underflow 0
		.amdhsa_exception_fp_ieee_inexact 0
		.amdhsa_exception_int_div_zero 0
	.end_amdhsa_kernel
	.section	.text._Z17warp_store_kernelILj256ELj4ELj32ELN6hipcub18WarpStoreAlgorithmE1EdEvPT3_,"axG",@progbits,_Z17warp_store_kernelILj256ELj4ELj32ELN6hipcub18WarpStoreAlgorithmE1EdEvPT3_,comdat
.Lfunc_end20:
	.size	_Z17warp_store_kernelILj256ELj4ELj32ELN6hipcub18WarpStoreAlgorithmE1EdEvPT3_, .Lfunc_end20-_Z17warp_store_kernelILj256ELj4ELj32ELN6hipcub18WarpStoreAlgorithmE1EdEvPT3_
                                        ; -- End function
	.set _Z17warp_store_kernelILj256ELj4ELj32ELN6hipcub18WarpStoreAlgorithmE1EdEvPT3_.num_vgpr, 6
	.set _Z17warp_store_kernelILj256ELj4ELj32ELN6hipcub18WarpStoreAlgorithmE1EdEvPT3_.num_agpr, 0
	.set _Z17warp_store_kernelILj256ELj4ELj32ELN6hipcub18WarpStoreAlgorithmE1EdEvPT3_.numbered_sgpr, 7
	.set _Z17warp_store_kernelILj256ELj4ELj32ELN6hipcub18WarpStoreAlgorithmE1EdEvPT3_.num_named_barrier, 0
	.set _Z17warp_store_kernelILj256ELj4ELj32ELN6hipcub18WarpStoreAlgorithmE1EdEvPT3_.private_seg_size, 0
	.set _Z17warp_store_kernelILj256ELj4ELj32ELN6hipcub18WarpStoreAlgorithmE1EdEvPT3_.uses_vcc, 1
	.set _Z17warp_store_kernelILj256ELj4ELj32ELN6hipcub18WarpStoreAlgorithmE1EdEvPT3_.uses_flat_scratch, 0
	.set _Z17warp_store_kernelILj256ELj4ELj32ELN6hipcub18WarpStoreAlgorithmE1EdEvPT3_.has_dyn_sized_stack, 0
	.set _Z17warp_store_kernelILj256ELj4ELj32ELN6hipcub18WarpStoreAlgorithmE1EdEvPT3_.has_recursion, 0
	.set _Z17warp_store_kernelILj256ELj4ELj32ELN6hipcub18WarpStoreAlgorithmE1EdEvPT3_.has_indirect_call, 0
	.section	.AMDGPU.csdata,"",@progbits
; Kernel info:
; codeLenInByte = 152
; TotalNumSgprs: 11
; NumVgprs: 6
; ScratchSize: 0
; MemoryBound: 0
; FloatMode: 240
; IeeeMode: 1
; LDSByteSize: 0 bytes/workgroup (compile time only)
; SGPRBlocks: 1
; VGPRBlocks: 1
; NumSGPRsForWavesPerEU: 11
; NumVGPRsForWavesPerEU: 6
; Occupancy: 10
; WaveLimiterHint : 1
; COMPUTE_PGM_RSRC2:SCRATCH_EN: 0
; COMPUTE_PGM_RSRC2:USER_SGPR: 6
; COMPUTE_PGM_RSRC2:TRAP_HANDLER: 0
; COMPUTE_PGM_RSRC2:TGID_X_EN: 1
; COMPUTE_PGM_RSRC2:TGID_Y_EN: 0
; COMPUTE_PGM_RSRC2:TGID_Z_EN: 0
; COMPUTE_PGM_RSRC2:TIDIG_COMP_CNT: 0
	.section	.text._Z17warp_store_kernelILj256ELj4ELj32ELN6hipcub18WarpStoreAlgorithmE2EdEvPT3_,"axG",@progbits,_Z17warp_store_kernelILj256ELj4ELj32ELN6hipcub18WarpStoreAlgorithmE2EdEvPT3_,comdat
	.protected	_Z17warp_store_kernelILj256ELj4ELj32ELN6hipcub18WarpStoreAlgorithmE2EdEvPT3_ ; -- Begin function _Z17warp_store_kernelILj256ELj4ELj32ELN6hipcub18WarpStoreAlgorithmE2EdEvPT3_
	.globl	_Z17warp_store_kernelILj256ELj4ELj32ELN6hipcub18WarpStoreAlgorithmE2EdEvPT3_
	.p2align	8
	.type	_Z17warp_store_kernelILj256ELj4ELj32ELN6hipcub18WarpStoreAlgorithmE2EdEvPT3_,@function
_Z17warp_store_kernelILj256ELj4ELj32ELN6hipcub18WarpStoreAlgorithmE2EdEvPT3_: ; @_Z17warp_store_kernelILj256ELj4ELj32ELN6hipcub18WarpStoreAlgorithmE2EdEvPT3_
; %bb.0:
	s_load_dwordx2 s[0:1], s[4:5], 0x0
	v_lshlrev_b32_e32 v0, 2, v0
	v_mbcnt_lo_u32_b32 v1, -1, 0
	v_and_b32_e32 v0, 0x380, v0
	v_mbcnt_hi_u32_b32 v4, -1, v1
	v_lshl_or_b32 v0, s6, 10, v0
	v_mov_b32_e32 v1, 0
	v_lshlrev_b64 v[2:3], 3, v[0:1]
	s_waitcnt lgkmcnt(0)
	v_mov_b32_e32 v0, s1
	v_add_co_u32_e32 v2, vcc, s0, v2
	v_addc_co_u32_e32 v0, vcc, v0, v3, vcc
	v_lshlrev_b32_e32 v3, 5, v4
	v_and_b32_e32 v3, 0x3e0, v3
	v_add_co_u32_e32 v6, vcc, v2, v3
	v_addc_co_u32_e32 v7, vcc, 0, v0, vcc
	v_mov_b32_e32 v3, 0x3ff00000
	v_mov_b32_e32 v0, v1
	;; [unrolled: 1-line block ×3, first 2 shown]
	global_store_dwordx4 v[6:7], v[0:3], off
	v_mov_b32_e32 v5, 0x40080000
	v_mov_b32_e32 v3, 2.0
	v_mov_b32_e32 v4, v1
	global_store_dwordx4 v[6:7], v[2:5], off offset:16
	s_endpgm
	.section	.rodata,"a",@progbits
	.p2align	6, 0x0
	.amdhsa_kernel _Z17warp_store_kernelILj256ELj4ELj32ELN6hipcub18WarpStoreAlgorithmE2EdEvPT3_
		.amdhsa_group_segment_fixed_size 0
		.amdhsa_private_segment_fixed_size 0
		.amdhsa_kernarg_size 8
		.amdhsa_user_sgpr_count 6
		.amdhsa_user_sgpr_private_segment_buffer 1
		.amdhsa_user_sgpr_dispatch_ptr 0
		.amdhsa_user_sgpr_queue_ptr 0
		.amdhsa_user_sgpr_kernarg_segment_ptr 1
		.amdhsa_user_sgpr_dispatch_id 0
		.amdhsa_user_sgpr_flat_scratch_init 0
		.amdhsa_user_sgpr_private_segment_size 0
		.amdhsa_uses_dynamic_stack 0
		.amdhsa_system_sgpr_private_segment_wavefront_offset 0
		.amdhsa_system_sgpr_workgroup_id_x 1
		.amdhsa_system_sgpr_workgroup_id_y 0
		.amdhsa_system_sgpr_workgroup_id_z 0
		.amdhsa_system_sgpr_workgroup_info 0
		.amdhsa_system_vgpr_workitem_id 0
		.amdhsa_next_free_vgpr 8
		.amdhsa_next_free_sgpr 7
		.amdhsa_reserve_vcc 1
		.amdhsa_reserve_flat_scratch 0
		.amdhsa_float_round_mode_32 0
		.amdhsa_float_round_mode_16_64 0
		.amdhsa_float_denorm_mode_32 3
		.amdhsa_float_denorm_mode_16_64 3
		.amdhsa_dx10_clamp 1
		.amdhsa_ieee_mode 1
		.amdhsa_fp16_overflow 0
		.amdhsa_exception_fp_ieee_invalid_op 0
		.amdhsa_exception_fp_denorm_src 0
		.amdhsa_exception_fp_ieee_div_zero 0
		.amdhsa_exception_fp_ieee_overflow 0
		.amdhsa_exception_fp_ieee_underflow 0
		.amdhsa_exception_fp_ieee_inexact 0
		.amdhsa_exception_int_div_zero 0
	.end_amdhsa_kernel
	.section	.text._Z17warp_store_kernelILj256ELj4ELj32ELN6hipcub18WarpStoreAlgorithmE2EdEvPT3_,"axG",@progbits,_Z17warp_store_kernelILj256ELj4ELj32ELN6hipcub18WarpStoreAlgorithmE2EdEvPT3_,comdat
.Lfunc_end21:
	.size	_Z17warp_store_kernelILj256ELj4ELj32ELN6hipcub18WarpStoreAlgorithmE2EdEvPT3_, .Lfunc_end21-_Z17warp_store_kernelILj256ELj4ELj32ELN6hipcub18WarpStoreAlgorithmE2EdEvPT3_
                                        ; -- End function
	.set _Z17warp_store_kernelILj256ELj4ELj32ELN6hipcub18WarpStoreAlgorithmE2EdEvPT3_.num_vgpr, 8
	.set _Z17warp_store_kernelILj256ELj4ELj32ELN6hipcub18WarpStoreAlgorithmE2EdEvPT3_.num_agpr, 0
	.set _Z17warp_store_kernelILj256ELj4ELj32ELN6hipcub18WarpStoreAlgorithmE2EdEvPT3_.numbered_sgpr, 7
	.set _Z17warp_store_kernelILj256ELj4ELj32ELN6hipcub18WarpStoreAlgorithmE2EdEvPT3_.num_named_barrier, 0
	.set _Z17warp_store_kernelILj256ELj4ELj32ELN6hipcub18WarpStoreAlgorithmE2EdEvPT3_.private_seg_size, 0
	.set _Z17warp_store_kernelILj256ELj4ELj32ELN6hipcub18WarpStoreAlgorithmE2EdEvPT3_.uses_vcc, 1
	.set _Z17warp_store_kernelILj256ELj4ELj32ELN6hipcub18WarpStoreAlgorithmE2EdEvPT3_.uses_flat_scratch, 0
	.set _Z17warp_store_kernelILj256ELj4ELj32ELN6hipcub18WarpStoreAlgorithmE2EdEvPT3_.has_dyn_sized_stack, 0
	.set _Z17warp_store_kernelILj256ELj4ELj32ELN6hipcub18WarpStoreAlgorithmE2EdEvPT3_.has_recursion, 0
	.set _Z17warp_store_kernelILj256ELj4ELj32ELN6hipcub18WarpStoreAlgorithmE2EdEvPT3_.has_indirect_call, 0
	.section	.AMDGPU.csdata,"",@progbits
; Kernel info:
; codeLenInByte = 144
; TotalNumSgprs: 11
; NumVgprs: 8
; ScratchSize: 0
; MemoryBound: 0
; FloatMode: 240
; IeeeMode: 1
; LDSByteSize: 0 bytes/workgroup (compile time only)
; SGPRBlocks: 1
; VGPRBlocks: 1
; NumSGPRsForWavesPerEU: 11
; NumVGPRsForWavesPerEU: 8
; Occupancy: 10
; WaveLimiterHint : 0
; COMPUTE_PGM_RSRC2:SCRATCH_EN: 0
; COMPUTE_PGM_RSRC2:USER_SGPR: 6
; COMPUTE_PGM_RSRC2:TRAP_HANDLER: 0
; COMPUTE_PGM_RSRC2:TGID_X_EN: 1
; COMPUTE_PGM_RSRC2:TGID_Y_EN: 0
; COMPUTE_PGM_RSRC2:TGID_Z_EN: 0
; COMPUTE_PGM_RSRC2:TIDIG_COMP_CNT: 0
	.section	.text._Z17warp_store_kernelILj256ELj4ELj32ELN6hipcub18WarpStoreAlgorithmE3EdEvPT3_,"axG",@progbits,_Z17warp_store_kernelILj256ELj4ELj32ELN6hipcub18WarpStoreAlgorithmE3EdEvPT3_,comdat
	.protected	_Z17warp_store_kernelILj256ELj4ELj32ELN6hipcub18WarpStoreAlgorithmE3EdEvPT3_ ; -- Begin function _Z17warp_store_kernelILj256ELj4ELj32ELN6hipcub18WarpStoreAlgorithmE3EdEvPT3_
	.globl	_Z17warp_store_kernelILj256ELj4ELj32ELN6hipcub18WarpStoreAlgorithmE3EdEvPT3_
	.p2align	8
	.type	_Z17warp_store_kernelILj256ELj4ELj32ELN6hipcub18WarpStoreAlgorithmE3EdEvPT3_,@function
_Z17warp_store_kernelILj256ELj4ELj32ELN6hipcub18WarpStoreAlgorithmE3EdEvPT3_: ; @_Z17warp_store_kernelILj256ELj4ELj32ELN6hipcub18WarpStoreAlgorithmE3EdEvPT3_
; %bb.0:
	s_load_dwordx2 s[0:1], s[4:5], 0x0
	v_lshrrev_b32_e32 v4, 5, v0
	v_mbcnt_lo_u32_b32 v0, -1, 0
	v_mbcnt_hi_u32_b32 v0, -1, v0
	s_lshl_b32 s2, s6, 10
	v_and_b32_e32 v8, 31, v0
	v_lshl_or_b32 v0, v4, 7, s2
	v_mov_b32_e32 v1, 0
	v_lshlrev_b64 v[2:3], 3, v[0:1]
	s_waitcnt lgkmcnt(0)
	v_mov_b32_e32 v0, s1
	v_add_co_u32_e32 v9, vcc, s0, v2
	v_addc_co_u32_e32 v10, vcc, v0, v3, vcc
	v_lshlrev_b32_e32 v0, 5, v8
	v_lshl_or_b32 v6, v4, 10, v0
	v_mov_b32_e32 v3, 0x3ff00000
	v_mov_b32_e32 v0, v1
	;; [unrolled: 1-line block ×3, first 2 shown]
	ds_write_b128 v6, v[0:3]
	v_mov_b32_e32 v3, 2.0
	v_mov_b32_e32 v5, 0x40080000
	v_mov_b32_e32 v4, v1
	s_movk_i32 s0, 0xffe8
	ds_write_b128 v6, v[2:5] offset:16
	v_mad_i32_i24 v4, v8, s0, v6
	; wave barrier
	ds_read2_b64 v[0:3], v4 offset1:32
	ds_read2_b64 v[4:7], v4 offset0:64 offset1:96
	v_lshlrev_b32_e32 v8, 3, v8
	v_add_co_u32_e32 v8, vcc, v9, v8
	v_addc_co_u32_e32 v9, vcc, 0, v10, vcc
	s_waitcnt lgkmcnt(1)
	global_store_dwordx2 v[8:9], v[0:1], off
	global_store_dwordx2 v[8:9], v[2:3], off offset:256
	s_waitcnt lgkmcnt(0)
	global_store_dwordx2 v[8:9], v[4:5], off offset:512
	global_store_dwordx2 v[8:9], v[6:7], off offset:768
	s_endpgm
	.section	.rodata,"a",@progbits
	.p2align	6, 0x0
	.amdhsa_kernel _Z17warp_store_kernelILj256ELj4ELj32ELN6hipcub18WarpStoreAlgorithmE3EdEvPT3_
		.amdhsa_group_segment_fixed_size 8192
		.amdhsa_private_segment_fixed_size 0
		.amdhsa_kernarg_size 8
		.amdhsa_user_sgpr_count 6
		.amdhsa_user_sgpr_private_segment_buffer 1
		.amdhsa_user_sgpr_dispatch_ptr 0
		.amdhsa_user_sgpr_queue_ptr 0
		.amdhsa_user_sgpr_kernarg_segment_ptr 1
		.amdhsa_user_sgpr_dispatch_id 0
		.amdhsa_user_sgpr_flat_scratch_init 0
		.amdhsa_user_sgpr_private_segment_size 0
		.amdhsa_uses_dynamic_stack 0
		.amdhsa_system_sgpr_private_segment_wavefront_offset 0
		.amdhsa_system_sgpr_workgroup_id_x 1
		.amdhsa_system_sgpr_workgroup_id_y 0
		.amdhsa_system_sgpr_workgroup_id_z 0
		.amdhsa_system_sgpr_workgroup_info 0
		.amdhsa_system_vgpr_workitem_id 0
		.amdhsa_next_free_vgpr 29
		.amdhsa_next_free_sgpr 61
		.amdhsa_reserve_vcc 1
		.amdhsa_reserve_flat_scratch 0
		.amdhsa_float_round_mode_32 0
		.amdhsa_float_round_mode_16_64 0
		.amdhsa_float_denorm_mode_32 3
		.amdhsa_float_denorm_mode_16_64 3
		.amdhsa_dx10_clamp 1
		.amdhsa_ieee_mode 1
		.amdhsa_fp16_overflow 0
		.amdhsa_exception_fp_ieee_invalid_op 0
		.amdhsa_exception_fp_denorm_src 0
		.amdhsa_exception_fp_ieee_div_zero 0
		.amdhsa_exception_fp_ieee_overflow 0
		.amdhsa_exception_fp_ieee_underflow 0
		.amdhsa_exception_fp_ieee_inexact 0
		.amdhsa_exception_int_div_zero 0
	.end_amdhsa_kernel
	.section	.text._Z17warp_store_kernelILj256ELj4ELj32ELN6hipcub18WarpStoreAlgorithmE3EdEvPT3_,"axG",@progbits,_Z17warp_store_kernelILj256ELj4ELj32ELN6hipcub18WarpStoreAlgorithmE3EdEvPT3_,comdat
.Lfunc_end22:
	.size	_Z17warp_store_kernelILj256ELj4ELj32ELN6hipcub18WarpStoreAlgorithmE3EdEvPT3_, .Lfunc_end22-_Z17warp_store_kernelILj256ELj4ELj32ELN6hipcub18WarpStoreAlgorithmE3EdEvPT3_
                                        ; -- End function
	.set _Z17warp_store_kernelILj256ELj4ELj32ELN6hipcub18WarpStoreAlgorithmE3EdEvPT3_.num_vgpr, 11
	.set _Z17warp_store_kernelILj256ELj4ELj32ELN6hipcub18WarpStoreAlgorithmE3EdEvPT3_.num_agpr, 0
	.set _Z17warp_store_kernelILj256ELj4ELj32ELN6hipcub18WarpStoreAlgorithmE3EdEvPT3_.numbered_sgpr, 7
	.set _Z17warp_store_kernelILj256ELj4ELj32ELN6hipcub18WarpStoreAlgorithmE3EdEvPT3_.num_named_barrier, 0
	.set _Z17warp_store_kernelILj256ELj4ELj32ELN6hipcub18WarpStoreAlgorithmE3EdEvPT3_.private_seg_size, 0
	.set _Z17warp_store_kernelILj256ELj4ELj32ELN6hipcub18WarpStoreAlgorithmE3EdEvPT3_.uses_vcc, 1
	.set _Z17warp_store_kernelILj256ELj4ELj32ELN6hipcub18WarpStoreAlgorithmE3EdEvPT3_.uses_flat_scratch, 0
	.set _Z17warp_store_kernelILj256ELj4ELj32ELN6hipcub18WarpStoreAlgorithmE3EdEvPT3_.has_dyn_sized_stack, 0
	.set _Z17warp_store_kernelILj256ELj4ELj32ELN6hipcub18WarpStoreAlgorithmE3EdEvPT3_.has_recursion, 0
	.set _Z17warp_store_kernelILj256ELj4ELj32ELN6hipcub18WarpStoreAlgorithmE3EdEvPT3_.has_indirect_call, 0
	.section	.AMDGPU.csdata,"",@progbits
; Kernel info:
; codeLenInByte = 216
; TotalNumSgprs: 11
; NumVgprs: 11
; ScratchSize: 0
; MemoryBound: 1
; FloatMode: 240
; IeeeMode: 1
; LDSByteSize: 8192 bytes/workgroup (compile time only)
; SGPRBlocks: 8
; VGPRBlocks: 7
; NumSGPRsForWavesPerEU: 65
; NumVGPRsForWavesPerEU: 29
; Occupancy: 8
; WaveLimiterHint : 1
; COMPUTE_PGM_RSRC2:SCRATCH_EN: 0
; COMPUTE_PGM_RSRC2:USER_SGPR: 6
; COMPUTE_PGM_RSRC2:TRAP_HANDLER: 0
; COMPUTE_PGM_RSRC2:TGID_X_EN: 1
; COMPUTE_PGM_RSRC2:TGID_Y_EN: 0
; COMPUTE_PGM_RSRC2:TGID_Z_EN: 0
; COMPUTE_PGM_RSRC2:TIDIG_COMP_CNT: 0
	.section	.text._Z17warp_store_kernelILj256ELj8ELj32ELN6hipcub18WarpStoreAlgorithmE0EdEvPT3_,"axG",@progbits,_Z17warp_store_kernelILj256ELj8ELj32ELN6hipcub18WarpStoreAlgorithmE0EdEvPT3_,comdat
	.protected	_Z17warp_store_kernelILj256ELj8ELj32ELN6hipcub18WarpStoreAlgorithmE0EdEvPT3_ ; -- Begin function _Z17warp_store_kernelILj256ELj8ELj32ELN6hipcub18WarpStoreAlgorithmE0EdEvPT3_
	.globl	_Z17warp_store_kernelILj256ELj8ELj32ELN6hipcub18WarpStoreAlgorithmE0EdEvPT3_
	.p2align	8
	.type	_Z17warp_store_kernelILj256ELj8ELj32ELN6hipcub18WarpStoreAlgorithmE0EdEvPT3_,@function
_Z17warp_store_kernelILj256ELj8ELj32ELN6hipcub18WarpStoreAlgorithmE0EdEvPT3_: ; @_Z17warp_store_kernelILj256ELj8ELj32ELN6hipcub18WarpStoreAlgorithmE0EdEvPT3_
; %bb.0:
	s_load_dwordx2 s[0:1], s[4:5], 0x0
	v_lshlrev_b32_e32 v0, 3, v0
	v_mbcnt_lo_u32_b32 v1, -1, 0
	v_and_b32_e32 v0, 0x700, v0
	v_mbcnt_hi_u32_b32 v4, -1, v1
	v_lshl_or_b32 v0, s6, 11, v0
	v_mov_b32_e32 v1, 0
	v_lshlrev_b64 v[2:3], 3, v[0:1]
	s_waitcnt lgkmcnt(0)
	v_mov_b32_e32 v0, s1
	v_add_co_u32_e32 v2, vcc, s0, v2
	v_addc_co_u32_e32 v0, vcc, v0, v3, vcc
	v_lshlrev_b32_e32 v3, 6, v4
	v_and_b32_e32 v3, 0x7c0, v3
	v_add_co_u32_e32 v6, vcc, v2, v3
	v_addc_co_u32_e32 v7, vcc, 0, v0, vcc
	v_mov_b32_e32 v3, 0x3ff00000
	v_mov_b32_e32 v0, v1
	;; [unrolled: 1-line block ×3, first 2 shown]
	global_store_dwordx4 v[6:7], v[0:3], off
	v_mov_b32_e32 v5, 0x40080000
	v_mov_b32_e32 v3, 2.0
	v_mov_b32_e32 v4, v1
	global_store_dwordx4 v[6:7], v[2:5], off offset:16
	s_nop 0
	v_mov_b32_e32 v3, 0x40100000
	v_mov_b32_e32 v5, 0x40140000
	global_store_dwordx4 v[6:7], v[2:5], off offset:32
	s_nop 0
	v_mov_b32_e32 v3, 0x40180000
	v_mov_b32_e32 v5, 0x401c0000
	global_store_dwordx4 v[6:7], v[2:5], off offset:48
	s_endpgm
	.section	.rodata,"a",@progbits
	.p2align	6, 0x0
	.amdhsa_kernel _Z17warp_store_kernelILj256ELj8ELj32ELN6hipcub18WarpStoreAlgorithmE0EdEvPT3_
		.amdhsa_group_segment_fixed_size 0
		.amdhsa_private_segment_fixed_size 0
		.amdhsa_kernarg_size 8
		.amdhsa_user_sgpr_count 6
		.amdhsa_user_sgpr_private_segment_buffer 1
		.amdhsa_user_sgpr_dispatch_ptr 0
		.amdhsa_user_sgpr_queue_ptr 0
		.amdhsa_user_sgpr_kernarg_segment_ptr 1
		.amdhsa_user_sgpr_dispatch_id 0
		.amdhsa_user_sgpr_flat_scratch_init 0
		.amdhsa_user_sgpr_private_segment_size 0
		.amdhsa_uses_dynamic_stack 0
		.amdhsa_system_sgpr_private_segment_wavefront_offset 0
		.amdhsa_system_sgpr_workgroup_id_x 1
		.amdhsa_system_sgpr_workgroup_id_y 0
		.amdhsa_system_sgpr_workgroup_id_z 0
		.amdhsa_system_sgpr_workgroup_info 0
		.amdhsa_system_vgpr_workitem_id 0
		.amdhsa_next_free_vgpr 8
		.amdhsa_next_free_sgpr 7
		.amdhsa_reserve_vcc 1
		.amdhsa_reserve_flat_scratch 0
		.amdhsa_float_round_mode_32 0
		.amdhsa_float_round_mode_16_64 0
		.amdhsa_float_denorm_mode_32 3
		.amdhsa_float_denorm_mode_16_64 3
		.amdhsa_dx10_clamp 1
		.amdhsa_ieee_mode 1
		.amdhsa_fp16_overflow 0
		.amdhsa_exception_fp_ieee_invalid_op 0
		.amdhsa_exception_fp_denorm_src 0
		.amdhsa_exception_fp_ieee_div_zero 0
		.amdhsa_exception_fp_ieee_overflow 0
		.amdhsa_exception_fp_ieee_underflow 0
		.amdhsa_exception_fp_ieee_inexact 0
		.amdhsa_exception_int_div_zero 0
	.end_amdhsa_kernel
	.section	.text._Z17warp_store_kernelILj256ELj8ELj32ELN6hipcub18WarpStoreAlgorithmE0EdEvPT3_,"axG",@progbits,_Z17warp_store_kernelILj256ELj8ELj32ELN6hipcub18WarpStoreAlgorithmE0EdEvPT3_,comdat
.Lfunc_end23:
	.size	_Z17warp_store_kernelILj256ELj8ELj32ELN6hipcub18WarpStoreAlgorithmE0EdEvPT3_, .Lfunc_end23-_Z17warp_store_kernelILj256ELj8ELj32ELN6hipcub18WarpStoreAlgorithmE0EdEvPT3_
                                        ; -- End function
	.set _Z17warp_store_kernelILj256ELj8ELj32ELN6hipcub18WarpStoreAlgorithmE0EdEvPT3_.num_vgpr, 8
	.set _Z17warp_store_kernelILj256ELj8ELj32ELN6hipcub18WarpStoreAlgorithmE0EdEvPT3_.num_agpr, 0
	.set _Z17warp_store_kernelILj256ELj8ELj32ELN6hipcub18WarpStoreAlgorithmE0EdEvPT3_.numbered_sgpr, 7
	.set _Z17warp_store_kernelILj256ELj8ELj32ELN6hipcub18WarpStoreAlgorithmE0EdEvPT3_.num_named_barrier, 0
	.set _Z17warp_store_kernelILj256ELj8ELj32ELN6hipcub18WarpStoreAlgorithmE0EdEvPT3_.private_seg_size, 0
	.set _Z17warp_store_kernelILj256ELj8ELj32ELN6hipcub18WarpStoreAlgorithmE0EdEvPT3_.uses_vcc, 1
	.set _Z17warp_store_kernelILj256ELj8ELj32ELN6hipcub18WarpStoreAlgorithmE0EdEvPT3_.uses_flat_scratch, 0
	.set _Z17warp_store_kernelILj256ELj8ELj32ELN6hipcub18WarpStoreAlgorithmE0EdEvPT3_.has_dyn_sized_stack, 0
	.set _Z17warp_store_kernelILj256ELj8ELj32ELN6hipcub18WarpStoreAlgorithmE0EdEvPT3_.has_recursion, 0
	.set _Z17warp_store_kernelILj256ELj8ELj32ELN6hipcub18WarpStoreAlgorithmE0EdEvPT3_.has_indirect_call, 0
	.section	.AMDGPU.csdata,"",@progbits
; Kernel info:
; codeLenInByte = 200
; TotalNumSgprs: 11
; NumVgprs: 8
; ScratchSize: 0
; MemoryBound: 1
; FloatMode: 240
; IeeeMode: 1
; LDSByteSize: 0 bytes/workgroup (compile time only)
; SGPRBlocks: 1
; VGPRBlocks: 1
; NumSGPRsForWavesPerEU: 11
; NumVGPRsForWavesPerEU: 8
; Occupancy: 10
; WaveLimiterHint : 1
; COMPUTE_PGM_RSRC2:SCRATCH_EN: 0
; COMPUTE_PGM_RSRC2:USER_SGPR: 6
; COMPUTE_PGM_RSRC2:TRAP_HANDLER: 0
; COMPUTE_PGM_RSRC2:TGID_X_EN: 1
; COMPUTE_PGM_RSRC2:TGID_Y_EN: 0
; COMPUTE_PGM_RSRC2:TGID_Z_EN: 0
; COMPUTE_PGM_RSRC2:TIDIG_COMP_CNT: 0
	.section	.text._Z17warp_store_kernelILj256ELj8ELj32ELN6hipcub18WarpStoreAlgorithmE1EdEvPT3_,"axG",@progbits,_Z17warp_store_kernelILj256ELj8ELj32ELN6hipcub18WarpStoreAlgorithmE1EdEvPT3_,comdat
	.protected	_Z17warp_store_kernelILj256ELj8ELj32ELN6hipcub18WarpStoreAlgorithmE1EdEvPT3_ ; -- Begin function _Z17warp_store_kernelILj256ELj8ELj32ELN6hipcub18WarpStoreAlgorithmE1EdEvPT3_
	.globl	_Z17warp_store_kernelILj256ELj8ELj32ELN6hipcub18WarpStoreAlgorithmE1EdEvPT3_
	.p2align	8
	.type	_Z17warp_store_kernelILj256ELj8ELj32ELN6hipcub18WarpStoreAlgorithmE1EdEvPT3_,@function
_Z17warp_store_kernelILj256ELj8ELj32ELN6hipcub18WarpStoreAlgorithmE1EdEvPT3_: ; @_Z17warp_store_kernelILj256ELj8ELj32ELN6hipcub18WarpStoreAlgorithmE1EdEvPT3_
; %bb.0:
	s_load_dwordx2 s[0:1], s[4:5], 0x0
	v_mbcnt_lo_u32_b32 v1, -1, 0
	v_lshlrev_b32_e32 v0, 3, v0
	v_mbcnt_hi_u32_b32 v1, -1, v1
	v_and_b32_e32 v0, 0x700, v0
	v_and_b32_e32 v4, 31, v1
	v_lshl_or_b32 v0, s6, 11, v0
	v_mov_b32_e32 v1, 0
	v_lshlrev_b64 v[2:3], 3, v[0:1]
	s_waitcnt lgkmcnt(0)
	v_mov_b32_e32 v0, s1
	v_add_co_u32_e32 v2, vcc, s0, v2
	v_addc_co_u32_e32 v0, vcc, v0, v3, vcc
	v_lshlrev_b32_e32 v3, 3, v4
	v_add_co_u32_e32 v2, vcc, v2, v3
	v_addc_co_u32_e32 v3, vcc, 0, v0, vcc
	v_mov_b32_e32 v5, 0x3ff00000
	v_mov_b32_e32 v4, v1
	global_store_dwordx2 v[2:3], v[4:5], off offset:256
	v_mov_b32_e32 v5, 2.0
	global_store_dwordx2 v[2:3], v[4:5], off offset:512
	v_mov_b32_e32 v5, 0x40080000
	global_store_dwordx2 v[2:3], v[4:5], off offset:768
	v_mov_b32_e32 v5, 0x40100000
	;; [unrolled: 2-line block ×4, first 2 shown]
	v_mov_b32_e32 v0, v1
	global_store_dwordx2 v[2:3], v[4:5], off offset:1536
	v_mov_b32_e32 v5, 0x401c0000
	global_store_dwordx2 v[2:3], v[0:1], off
	global_store_dwordx2 v[2:3], v[4:5], off offset:1792
	s_endpgm
	.section	.rodata,"a",@progbits
	.p2align	6, 0x0
	.amdhsa_kernel _Z17warp_store_kernelILj256ELj8ELj32ELN6hipcub18WarpStoreAlgorithmE1EdEvPT3_
		.amdhsa_group_segment_fixed_size 0
		.amdhsa_private_segment_fixed_size 0
		.amdhsa_kernarg_size 8
		.amdhsa_user_sgpr_count 6
		.amdhsa_user_sgpr_private_segment_buffer 1
		.amdhsa_user_sgpr_dispatch_ptr 0
		.amdhsa_user_sgpr_queue_ptr 0
		.amdhsa_user_sgpr_kernarg_segment_ptr 1
		.amdhsa_user_sgpr_dispatch_id 0
		.amdhsa_user_sgpr_flat_scratch_init 0
		.amdhsa_user_sgpr_private_segment_size 0
		.amdhsa_uses_dynamic_stack 0
		.amdhsa_system_sgpr_private_segment_wavefront_offset 0
		.amdhsa_system_sgpr_workgroup_id_x 1
		.amdhsa_system_sgpr_workgroup_id_y 0
		.amdhsa_system_sgpr_workgroup_id_z 0
		.amdhsa_system_sgpr_workgroup_info 0
		.amdhsa_system_vgpr_workitem_id 0
		.amdhsa_next_free_vgpr 6
		.amdhsa_next_free_sgpr 7
		.amdhsa_reserve_vcc 1
		.amdhsa_reserve_flat_scratch 0
		.amdhsa_float_round_mode_32 0
		.amdhsa_float_round_mode_16_64 0
		.amdhsa_float_denorm_mode_32 3
		.amdhsa_float_denorm_mode_16_64 3
		.amdhsa_dx10_clamp 1
		.amdhsa_ieee_mode 1
		.amdhsa_fp16_overflow 0
		.amdhsa_exception_fp_ieee_invalid_op 0
		.amdhsa_exception_fp_denorm_src 0
		.amdhsa_exception_fp_ieee_div_zero 0
		.amdhsa_exception_fp_ieee_overflow 0
		.amdhsa_exception_fp_ieee_underflow 0
		.amdhsa_exception_fp_ieee_inexact 0
		.amdhsa_exception_int_div_zero 0
	.end_amdhsa_kernel
	.section	.text._Z17warp_store_kernelILj256ELj8ELj32ELN6hipcub18WarpStoreAlgorithmE1EdEvPT3_,"axG",@progbits,_Z17warp_store_kernelILj256ELj8ELj32ELN6hipcub18WarpStoreAlgorithmE1EdEvPT3_,comdat
.Lfunc_end24:
	.size	_Z17warp_store_kernelILj256ELj8ELj32ELN6hipcub18WarpStoreAlgorithmE1EdEvPT3_, .Lfunc_end24-_Z17warp_store_kernelILj256ELj8ELj32ELN6hipcub18WarpStoreAlgorithmE1EdEvPT3_
                                        ; -- End function
	.set _Z17warp_store_kernelILj256ELj8ELj32ELN6hipcub18WarpStoreAlgorithmE1EdEvPT3_.num_vgpr, 6
	.set _Z17warp_store_kernelILj256ELj8ELj32ELN6hipcub18WarpStoreAlgorithmE1EdEvPT3_.num_agpr, 0
	.set _Z17warp_store_kernelILj256ELj8ELj32ELN6hipcub18WarpStoreAlgorithmE1EdEvPT3_.numbered_sgpr, 7
	.set _Z17warp_store_kernelILj256ELj8ELj32ELN6hipcub18WarpStoreAlgorithmE1EdEvPT3_.num_named_barrier, 0
	.set _Z17warp_store_kernelILj256ELj8ELj32ELN6hipcub18WarpStoreAlgorithmE1EdEvPT3_.private_seg_size, 0
	.set _Z17warp_store_kernelILj256ELj8ELj32ELN6hipcub18WarpStoreAlgorithmE1EdEvPT3_.uses_vcc, 1
	.set _Z17warp_store_kernelILj256ELj8ELj32ELN6hipcub18WarpStoreAlgorithmE1EdEvPT3_.uses_flat_scratch, 0
	.set _Z17warp_store_kernelILj256ELj8ELj32ELN6hipcub18WarpStoreAlgorithmE1EdEvPT3_.has_dyn_sized_stack, 0
	.set _Z17warp_store_kernelILj256ELj8ELj32ELN6hipcub18WarpStoreAlgorithmE1EdEvPT3_.has_recursion, 0
	.set _Z17warp_store_kernelILj256ELj8ELj32ELN6hipcub18WarpStoreAlgorithmE1EdEvPT3_.has_indirect_call, 0
	.section	.AMDGPU.csdata,"",@progbits
; Kernel info:
; codeLenInByte = 216
; TotalNumSgprs: 11
; NumVgprs: 6
; ScratchSize: 0
; MemoryBound: 1
; FloatMode: 240
; IeeeMode: 1
; LDSByteSize: 0 bytes/workgroup (compile time only)
; SGPRBlocks: 1
; VGPRBlocks: 1
; NumSGPRsForWavesPerEU: 11
; NumVGPRsForWavesPerEU: 6
; Occupancy: 10
; WaveLimiterHint : 1
; COMPUTE_PGM_RSRC2:SCRATCH_EN: 0
; COMPUTE_PGM_RSRC2:USER_SGPR: 6
; COMPUTE_PGM_RSRC2:TRAP_HANDLER: 0
; COMPUTE_PGM_RSRC2:TGID_X_EN: 1
; COMPUTE_PGM_RSRC2:TGID_Y_EN: 0
; COMPUTE_PGM_RSRC2:TGID_Z_EN: 0
; COMPUTE_PGM_RSRC2:TIDIG_COMP_CNT: 0
	.section	.text._Z17warp_store_kernelILj256ELj8ELj32ELN6hipcub18WarpStoreAlgorithmE2EdEvPT3_,"axG",@progbits,_Z17warp_store_kernelILj256ELj8ELj32ELN6hipcub18WarpStoreAlgorithmE2EdEvPT3_,comdat
	.protected	_Z17warp_store_kernelILj256ELj8ELj32ELN6hipcub18WarpStoreAlgorithmE2EdEvPT3_ ; -- Begin function _Z17warp_store_kernelILj256ELj8ELj32ELN6hipcub18WarpStoreAlgorithmE2EdEvPT3_
	.globl	_Z17warp_store_kernelILj256ELj8ELj32ELN6hipcub18WarpStoreAlgorithmE2EdEvPT3_
	.p2align	8
	.type	_Z17warp_store_kernelILj256ELj8ELj32ELN6hipcub18WarpStoreAlgorithmE2EdEvPT3_,@function
_Z17warp_store_kernelILj256ELj8ELj32ELN6hipcub18WarpStoreAlgorithmE2EdEvPT3_: ; @_Z17warp_store_kernelILj256ELj8ELj32ELN6hipcub18WarpStoreAlgorithmE2EdEvPT3_
; %bb.0:
	s_load_dwordx2 s[0:1], s[4:5], 0x0
	v_lshlrev_b32_e32 v0, 3, v0
	v_mbcnt_lo_u32_b32 v1, -1, 0
	v_and_b32_e32 v0, 0x700, v0
	v_mbcnt_hi_u32_b32 v4, -1, v1
	v_lshl_or_b32 v0, s6, 11, v0
	v_mov_b32_e32 v1, 0
	v_lshlrev_b64 v[2:3], 3, v[0:1]
	s_waitcnt lgkmcnt(0)
	v_mov_b32_e32 v0, s1
	v_add_co_u32_e32 v2, vcc, s0, v2
	v_addc_co_u32_e32 v0, vcc, v0, v3, vcc
	v_lshlrev_b32_e32 v3, 6, v4
	v_and_b32_e32 v3, 0x7c0, v3
	v_add_co_u32_e32 v6, vcc, v2, v3
	v_addc_co_u32_e32 v7, vcc, 0, v0, vcc
	v_mov_b32_e32 v3, 0x3ff00000
	v_mov_b32_e32 v0, v1
	;; [unrolled: 1-line block ×3, first 2 shown]
	global_store_dwordx4 v[6:7], v[0:3], off
	v_mov_b32_e32 v5, 0x40080000
	v_mov_b32_e32 v3, 2.0
	v_mov_b32_e32 v4, v1
	global_store_dwordx4 v[6:7], v[2:5], off offset:16
	s_nop 0
	v_mov_b32_e32 v3, 0x40100000
	v_mov_b32_e32 v5, 0x40140000
	global_store_dwordx4 v[6:7], v[2:5], off offset:32
	s_nop 0
	v_mov_b32_e32 v3, 0x40180000
	v_mov_b32_e32 v5, 0x401c0000
	global_store_dwordx4 v[6:7], v[2:5], off offset:48
	s_endpgm
	.section	.rodata,"a",@progbits
	.p2align	6, 0x0
	.amdhsa_kernel _Z17warp_store_kernelILj256ELj8ELj32ELN6hipcub18WarpStoreAlgorithmE2EdEvPT3_
		.amdhsa_group_segment_fixed_size 0
		.amdhsa_private_segment_fixed_size 0
		.amdhsa_kernarg_size 8
		.amdhsa_user_sgpr_count 6
		.amdhsa_user_sgpr_private_segment_buffer 1
		.amdhsa_user_sgpr_dispatch_ptr 0
		.amdhsa_user_sgpr_queue_ptr 0
		.amdhsa_user_sgpr_kernarg_segment_ptr 1
		.amdhsa_user_sgpr_dispatch_id 0
		.amdhsa_user_sgpr_flat_scratch_init 0
		.amdhsa_user_sgpr_private_segment_size 0
		.amdhsa_uses_dynamic_stack 0
		.amdhsa_system_sgpr_private_segment_wavefront_offset 0
		.amdhsa_system_sgpr_workgroup_id_x 1
		.amdhsa_system_sgpr_workgroup_id_y 0
		.amdhsa_system_sgpr_workgroup_id_z 0
		.amdhsa_system_sgpr_workgroup_info 0
		.amdhsa_system_vgpr_workitem_id 0
		.amdhsa_next_free_vgpr 8
		.amdhsa_next_free_sgpr 7
		.amdhsa_reserve_vcc 1
		.amdhsa_reserve_flat_scratch 0
		.amdhsa_float_round_mode_32 0
		.amdhsa_float_round_mode_16_64 0
		.amdhsa_float_denorm_mode_32 3
		.amdhsa_float_denorm_mode_16_64 3
		.amdhsa_dx10_clamp 1
		.amdhsa_ieee_mode 1
		.amdhsa_fp16_overflow 0
		.amdhsa_exception_fp_ieee_invalid_op 0
		.amdhsa_exception_fp_denorm_src 0
		.amdhsa_exception_fp_ieee_div_zero 0
		.amdhsa_exception_fp_ieee_overflow 0
		.amdhsa_exception_fp_ieee_underflow 0
		.amdhsa_exception_fp_ieee_inexact 0
		.amdhsa_exception_int_div_zero 0
	.end_amdhsa_kernel
	.section	.text._Z17warp_store_kernelILj256ELj8ELj32ELN6hipcub18WarpStoreAlgorithmE2EdEvPT3_,"axG",@progbits,_Z17warp_store_kernelILj256ELj8ELj32ELN6hipcub18WarpStoreAlgorithmE2EdEvPT3_,comdat
.Lfunc_end25:
	.size	_Z17warp_store_kernelILj256ELj8ELj32ELN6hipcub18WarpStoreAlgorithmE2EdEvPT3_, .Lfunc_end25-_Z17warp_store_kernelILj256ELj8ELj32ELN6hipcub18WarpStoreAlgorithmE2EdEvPT3_
                                        ; -- End function
	.set _Z17warp_store_kernelILj256ELj8ELj32ELN6hipcub18WarpStoreAlgorithmE2EdEvPT3_.num_vgpr, 8
	.set _Z17warp_store_kernelILj256ELj8ELj32ELN6hipcub18WarpStoreAlgorithmE2EdEvPT3_.num_agpr, 0
	.set _Z17warp_store_kernelILj256ELj8ELj32ELN6hipcub18WarpStoreAlgorithmE2EdEvPT3_.numbered_sgpr, 7
	.set _Z17warp_store_kernelILj256ELj8ELj32ELN6hipcub18WarpStoreAlgorithmE2EdEvPT3_.num_named_barrier, 0
	.set _Z17warp_store_kernelILj256ELj8ELj32ELN6hipcub18WarpStoreAlgorithmE2EdEvPT3_.private_seg_size, 0
	.set _Z17warp_store_kernelILj256ELj8ELj32ELN6hipcub18WarpStoreAlgorithmE2EdEvPT3_.uses_vcc, 1
	.set _Z17warp_store_kernelILj256ELj8ELj32ELN6hipcub18WarpStoreAlgorithmE2EdEvPT3_.uses_flat_scratch, 0
	.set _Z17warp_store_kernelILj256ELj8ELj32ELN6hipcub18WarpStoreAlgorithmE2EdEvPT3_.has_dyn_sized_stack, 0
	.set _Z17warp_store_kernelILj256ELj8ELj32ELN6hipcub18WarpStoreAlgorithmE2EdEvPT3_.has_recursion, 0
	.set _Z17warp_store_kernelILj256ELj8ELj32ELN6hipcub18WarpStoreAlgorithmE2EdEvPT3_.has_indirect_call, 0
	.section	.AMDGPU.csdata,"",@progbits
; Kernel info:
; codeLenInByte = 200
; TotalNumSgprs: 11
; NumVgprs: 8
; ScratchSize: 0
; MemoryBound: 1
; FloatMode: 240
; IeeeMode: 1
; LDSByteSize: 0 bytes/workgroup (compile time only)
; SGPRBlocks: 1
; VGPRBlocks: 1
; NumSGPRsForWavesPerEU: 11
; NumVGPRsForWavesPerEU: 8
; Occupancy: 10
; WaveLimiterHint : 1
; COMPUTE_PGM_RSRC2:SCRATCH_EN: 0
; COMPUTE_PGM_RSRC2:USER_SGPR: 6
; COMPUTE_PGM_RSRC2:TRAP_HANDLER: 0
; COMPUTE_PGM_RSRC2:TGID_X_EN: 1
; COMPUTE_PGM_RSRC2:TGID_Y_EN: 0
; COMPUTE_PGM_RSRC2:TGID_Z_EN: 0
; COMPUTE_PGM_RSRC2:TIDIG_COMP_CNT: 0
	.section	.text._Z17warp_store_kernelILj256ELj8ELj32ELN6hipcub18WarpStoreAlgorithmE3EdEvPT3_,"axG",@progbits,_Z17warp_store_kernelILj256ELj8ELj32ELN6hipcub18WarpStoreAlgorithmE3EdEvPT3_,comdat
	.protected	_Z17warp_store_kernelILj256ELj8ELj32ELN6hipcub18WarpStoreAlgorithmE3EdEvPT3_ ; -- Begin function _Z17warp_store_kernelILj256ELj8ELj32ELN6hipcub18WarpStoreAlgorithmE3EdEvPT3_
	.globl	_Z17warp_store_kernelILj256ELj8ELj32ELN6hipcub18WarpStoreAlgorithmE3EdEvPT3_
	.p2align	8
	.type	_Z17warp_store_kernelILj256ELj8ELj32ELN6hipcub18WarpStoreAlgorithmE3EdEvPT3_,@function
_Z17warp_store_kernelILj256ELj8ELj32ELN6hipcub18WarpStoreAlgorithmE3EdEvPT3_: ; @_Z17warp_store_kernelILj256ELj8ELj32ELN6hipcub18WarpStoreAlgorithmE3EdEvPT3_
; %bb.0:
	s_load_dwordx2 s[0:1], s[4:5], 0x0
	v_lshrrev_b32_e32 v4, 5, v0
	v_mbcnt_lo_u32_b32 v0, -1, 0
	v_mbcnt_hi_u32_b32 v0, -1, v0
	s_lshl_b32 s2, s6, 11
	v_and_b32_e32 v16, 31, v0
	v_lshl_or_b32 v0, v4, 8, s2
	v_mov_b32_e32 v1, 0
	v_lshlrev_b64 v[2:3], 3, v[0:1]
	s_waitcnt lgkmcnt(0)
	v_mov_b32_e32 v0, s1
	v_add_co_u32_e32 v17, vcc, s0, v2
	v_addc_co_u32_e32 v18, vcc, v0, v3, vcc
	v_lshlrev_b32_e32 v0, 6, v16
	v_lshl_or_b32 v6, v4, 11, v0
	v_mov_b32_e32 v3, 0x3ff00000
	v_mov_b32_e32 v0, v1
	;; [unrolled: 1-line block ×3, first 2 shown]
	ds_write_b128 v6, v[0:3]
	v_mov_b32_e32 v3, 2.0
	v_mov_b32_e32 v5, 0x40080000
	v_mov_b32_e32 v4, v1
	ds_write_b128 v6, v[2:5] offset:16
	v_mov_b32_e32 v3, 0x40100000
	v_mov_b32_e32 v5, 0x40140000
	s_movk_i32 s0, 0xffc8
	ds_write_b128 v6, v[2:5] offset:32
	v_mov_b32_e32 v3, 0x40180000
	v_mov_b32_e32 v5, 0x401c0000
	v_mad_i32_i24 v12, v16, s0, v6
	ds_write_b128 v6, v[2:5] offset:48
	; wave barrier
	ds_read2_b64 v[0:3], v12 offset1:32
	ds_read2_b64 v[4:7], v12 offset0:64 offset1:96
	ds_read2_b64 v[8:11], v12 offset0:128 offset1:160
	;; [unrolled: 1-line block ×3, first 2 shown]
	v_lshlrev_b32_e32 v16, 3, v16
	v_add_co_u32_e32 v16, vcc, v17, v16
	v_addc_co_u32_e32 v17, vcc, 0, v18, vcc
	s_waitcnt lgkmcnt(3)
	global_store_dwordx2 v[16:17], v[0:1], off
	global_store_dwordx2 v[16:17], v[2:3], off offset:256
	s_waitcnt lgkmcnt(2)
	global_store_dwordx2 v[16:17], v[4:5], off offset:512
	global_store_dwordx2 v[16:17], v[6:7], off offset:768
	s_waitcnt lgkmcnt(1)
	global_store_dwordx2 v[16:17], v[8:9], off offset:1024
	;; [unrolled: 3-line block ×3, first 2 shown]
	global_store_dwordx2 v[16:17], v[14:15], off offset:1792
	s_endpgm
	.section	.rodata,"a",@progbits
	.p2align	6, 0x0
	.amdhsa_kernel _Z17warp_store_kernelILj256ELj8ELj32ELN6hipcub18WarpStoreAlgorithmE3EdEvPT3_
		.amdhsa_group_segment_fixed_size 16384
		.amdhsa_private_segment_fixed_size 0
		.amdhsa_kernarg_size 8
		.amdhsa_user_sgpr_count 6
		.amdhsa_user_sgpr_private_segment_buffer 1
		.amdhsa_user_sgpr_dispatch_ptr 0
		.amdhsa_user_sgpr_queue_ptr 0
		.amdhsa_user_sgpr_kernarg_segment_ptr 1
		.amdhsa_user_sgpr_dispatch_id 0
		.amdhsa_user_sgpr_flat_scratch_init 0
		.amdhsa_user_sgpr_private_segment_size 0
		.amdhsa_uses_dynamic_stack 0
		.amdhsa_system_sgpr_private_segment_wavefront_offset 0
		.amdhsa_system_sgpr_workgroup_id_x 1
		.amdhsa_system_sgpr_workgroup_id_y 0
		.amdhsa_system_sgpr_workgroup_id_z 0
		.amdhsa_system_sgpr_workgroup_info 0
		.amdhsa_system_vgpr_workitem_id 0
		.amdhsa_next_free_vgpr 49
		.amdhsa_next_free_sgpr 98
		.amdhsa_reserve_vcc 1
		.amdhsa_reserve_flat_scratch 0
		.amdhsa_float_round_mode_32 0
		.amdhsa_float_round_mode_16_64 0
		.amdhsa_float_denorm_mode_32 3
		.amdhsa_float_denorm_mode_16_64 3
		.amdhsa_dx10_clamp 1
		.amdhsa_ieee_mode 1
		.amdhsa_fp16_overflow 0
		.amdhsa_exception_fp_ieee_invalid_op 0
		.amdhsa_exception_fp_denorm_src 0
		.amdhsa_exception_fp_ieee_div_zero 0
		.amdhsa_exception_fp_ieee_overflow 0
		.amdhsa_exception_fp_ieee_underflow 0
		.amdhsa_exception_fp_ieee_inexact 0
		.amdhsa_exception_int_div_zero 0
	.end_amdhsa_kernel
	.section	.text._Z17warp_store_kernelILj256ELj8ELj32ELN6hipcub18WarpStoreAlgorithmE3EdEvPT3_,"axG",@progbits,_Z17warp_store_kernelILj256ELj8ELj32ELN6hipcub18WarpStoreAlgorithmE3EdEvPT3_,comdat
.Lfunc_end26:
	.size	_Z17warp_store_kernelILj256ELj8ELj32ELN6hipcub18WarpStoreAlgorithmE3EdEvPT3_, .Lfunc_end26-_Z17warp_store_kernelILj256ELj8ELj32ELN6hipcub18WarpStoreAlgorithmE3EdEvPT3_
                                        ; -- End function
	.set _Z17warp_store_kernelILj256ELj8ELj32ELN6hipcub18WarpStoreAlgorithmE3EdEvPT3_.num_vgpr, 19
	.set _Z17warp_store_kernelILj256ELj8ELj32ELN6hipcub18WarpStoreAlgorithmE3EdEvPT3_.num_agpr, 0
	.set _Z17warp_store_kernelILj256ELj8ELj32ELN6hipcub18WarpStoreAlgorithmE3EdEvPT3_.numbered_sgpr, 7
	.set _Z17warp_store_kernelILj256ELj8ELj32ELN6hipcub18WarpStoreAlgorithmE3EdEvPT3_.num_named_barrier, 0
	.set _Z17warp_store_kernelILj256ELj8ELj32ELN6hipcub18WarpStoreAlgorithmE3EdEvPT3_.private_seg_size, 0
	.set _Z17warp_store_kernelILj256ELj8ELj32ELN6hipcub18WarpStoreAlgorithmE3EdEvPT3_.uses_vcc, 1
	.set _Z17warp_store_kernelILj256ELj8ELj32ELN6hipcub18WarpStoreAlgorithmE3EdEvPT3_.uses_flat_scratch, 0
	.set _Z17warp_store_kernelILj256ELj8ELj32ELN6hipcub18WarpStoreAlgorithmE3EdEvPT3_.has_dyn_sized_stack, 0
	.set _Z17warp_store_kernelILj256ELj8ELj32ELN6hipcub18WarpStoreAlgorithmE3EdEvPT3_.has_recursion, 0
	.set _Z17warp_store_kernelILj256ELj8ELj32ELN6hipcub18WarpStoreAlgorithmE3EdEvPT3_.has_indirect_call, 0
	.section	.AMDGPU.csdata,"",@progbits
; Kernel info:
; codeLenInByte = 320
; TotalNumSgprs: 11
; NumVgprs: 19
; ScratchSize: 0
; MemoryBound: 1
; FloatMode: 240
; IeeeMode: 1
; LDSByteSize: 16384 bytes/workgroup (compile time only)
; SGPRBlocks: 12
; VGPRBlocks: 12
; NumSGPRsForWavesPerEU: 102
; NumVGPRsForWavesPerEU: 49
; Occupancy: 4
; WaveLimiterHint : 1
; COMPUTE_PGM_RSRC2:SCRATCH_EN: 0
; COMPUTE_PGM_RSRC2:USER_SGPR: 6
; COMPUTE_PGM_RSRC2:TRAP_HANDLER: 0
; COMPUTE_PGM_RSRC2:TGID_X_EN: 1
; COMPUTE_PGM_RSRC2:TGID_Y_EN: 0
; COMPUTE_PGM_RSRC2:TGID_Z_EN: 0
; COMPUTE_PGM_RSRC2:TIDIG_COMP_CNT: 0
	.section	.text._Z17warp_store_kernelILj256ELj16ELj32ELN6hipcub18WarpStoreAlgorithmE0EdEvPT3_,"axG",@progbits,_Z17warp_store_kernelILj256ELj16ELj32ELN6hipcub18WarpStoreAlgorithmE0EdEvPT3_,comdat
	.protected	_Z17warp_store_kernelILj256ELj16ELj32ELN6hipcub18WarpStoreAlgorithmE0EdEvPT3_ ; -- Begin function _Z17warp_store_kernelILj256ELj16ELj32ELN6hipcub18WarpStoreAlgorithmE0EdEvPT3_
	.globl	_Z17warp_store_kernelILj256ELj16ELj32ELN6hipcub18WarpStoreAlgorithmE0EdEvPT3_
	.p2align	8
	.type	_Z17warp_store_kernelILj256ELj16ELj32ELN6hipcub18WarpStoreAlgorithmE0EdEvPT3_,@function
_Z17warp_store_kernelILj256ELj16ELj32ELN6hipcub18WarpStoreAlgorithmE0EdEvPT3_: ; @_Z17warp_store_kernelILj256ELj16ELj32ELN6hipcub18WarpStoreAlgorithmE0EdEvPT3_
; %bb.0:
	s_load_dwordx2 s[0:1], s[4:5], 0x0
	v_lshlrev_b32_e32 v0, 4, v0
	v_mbcnt_lo_u32_b32 v1, -1, 0
	v_and_b32_e32 v0, 0xe00, v0
	v_mbcnt_hi_u32_b32 v4, -1, v1
	v_lshl_or_b32 v0, s6, 12, v0
	v_mov_b32_e32 v1, 0
	v_lshlrev_b64 v[2:3], 3, v[0:1]
	s_waitcnt lgkmcnt(0)
	v_mov_b32_e32 v0, s1
	v_add_co_u32_e32 v2, vcc, s0, v2
	v_addc_co_u32_e32 v0, vcc, v0, v3, vcc
	v_lshlrev_b32_e32 v3, 7, v4
	v_and_b32_e32 v3, 0xf80, v3
	v_add_co_u32_e32 v6, vcc, v2, v3
	v_addc_co_u32_e32 v7, vcc, 0, v0, vcc
	v_mov_b32_e32 v3, 0x3ff00000
	v_mov_b32_e32 v0, v1
	;; [unrolled: 1-line block ×3, first 2 shown]
	global_store_dwordx4 v[6:7], v[0:3], off
	v_mov_b32_e32 v5, 0x40080000
	v_mov_b32_e32 v3, 2.0
	v_mov_b32_e32 v4, v1
	global_store_dwordx4 v[6:7], v[2:5], off offset:16
	s_nop 0
	v_mov_b32_e32 v3, 0x40100000
	v_mov_b32_e32 v5, 0x40140000
	global_store_dwordx4 v[6:7], v[2:5], off offset:32
	s_nop 0
	v_mov_b32_e32 v3, 0x40180000
	;; [unrolled: 4-line block ×6, first 2 shown]
	v_mov_b32_e32 v5, 0x402e0000
	global_store_dwordx4 v[6:7], v[2:5], off offset:112
	s_endpgm
	.section	.rodata,"a",@progbits
	.p2align	6, 0x0
	.amdhsa_kernel _Z17warp_store_kernelILj256ELj16ELj32ELN6hipcub18WarpStoreAlgorithmE0EdEvPT3_
		.amdhsa_group_segment_fixed_size 0
		.amdhsa_private_segment_fixed_size 0
		.amdhsa_kernarg_size 8
		.amdhsa_user_sgpr_count 6
		.amdhsa_user_sgpr_private_segment_buffer 1
		.amdhsa_user_sgpr_dispatch_ptr 0
		.amdhsa_user_sgpr_queue_ptr 0
		.amdhsa_user_sgpr_kernarg_segment_ptr 1
		.amdhsa_user_sgpr_dispatch_id 0
		.amdhsa_user_sgpr_flat_scratch_init 0
		.amdhsa_user_sgpr_private_segment_size 0
		.amdhsa_uses_dynamic_stack 0
		.amdhsa_system_sgpr_private_segment_wavefront_offset 0
		.amdhsa_system_sgpr_workgroup_id_x 1
		.amdhsa_system_sgpr_workgroup_id_y 0
		.amdhsa_system_sgpr_workgroup_id_z 0
		.amdhsa_system_sgpr_workgroup_info 0
		.amdhsa_system_vgpr_workitem_id 0
		.amdhsa_next_free_vgpr 8
		.amdhsa_next_free_sgpr 7
		.amdhsa_reserve_vcc 1
		.amdhsa_reserve_flat_scratch 0
		.amdhsa_float_round_mode_32 0
		.amdhsa_float_round_mode_16_64 0
		.amdhsa_float_denorm_mode_32 3
		.amdhsa_float_denorm_mode_16_64 3
		.amdhsa_dx10_clamp 1
		.amdhsa_ieee_mode 1
		.amdhsa_fp16_overflow 0
		.amdhsa_exception_fp_ieee_invalid_op 0
		.amdhsa_exception_fp_denorm_src 0
		.amdhsa_exception_fp_ieee_div_zero 0
		.amdhsa_exception_fp_ieee_overflow 0
		.amdhsa_exception_fp_ieee_underflow 0
		.amdhsa_exception_fp_ieee_inexact 0
		.amdhsa_exception_int_div_zero 0
	.end_amdhsa_kernel
	.section	.text._Z17warp_store_kernelILj256ELj16ELj32ELN6hipcub18WarpStoreAlgorithmE0EdEvPT3_,"axG",@progbits,_Z17warp_store_kernelILj256ELj16ELj32ELN6hipcub18WarpStoreAlgorithmE0EdEvPT3_,comdat
.Lfunc_end27:
	.size	_Z17warp_store_kernelILj256ELj16ELj32ELN6hipcub18WarpStoreAlgorithmE0EdEvPT3_, .Lfunc_end27-_Z17warp_store_kernelILj256ELj16ELj32ELN6hipcub18WarpStoreAlgorithmE0EdEvPT3_
                                        ; -- End function
	.set _Z17warp_store_kernelILj256ELj16ELj32ELN6hipcub18WarpStoreAlgorithmE0EdEvPT3_.num_vgpr, 8
	.set _Z17warp_store_kernelILj256ELj16ELj32ELN6hipcub18WarpStoreAlgorithmE0EdEvPT3_.num_agpr, 0
	.set _Z17warp_store_kernelILj256ELj16ELj32ELN6hipcub18WarpStoreAlgorithmE0EdEvPT3_.numbered_sgpr, 7
	.set _Z17warp_store_kernelILj256ELj16ELj32ELN6hipcub18WarpStoreAlgorithmE0EdEvPT3_.num_named_barrier, 0
	.set _Z17warp_store_kernelILj256ELj16ELj32ELN6hipcub18WarpStoreAlgorithmE0EdEvPT3_.private_seg_size, 0
	.set _Z17warp_store_kernelILj256ELj16ELj32ELN6hipcub18WarpStoreAlgorithmE0EdEvPT3_.uses_vcc, 1
	.set _Z17warp_store_kernelILj256ELj16ELj32ELN6hipcub18WarpStoreAlgorithmE0EdEvPT3_.uses_flat_scratch, 0
	.set _Z17warp_store_kernelILj256ELj16ELj32ELN6hipcub18WarpStoreAlgorithmE0EdEvPT3_.has_dyn_sized_stack, 0
	.set _Z17warp_store_kernelILj256ELj16ELj32ELN6hipcub18WarpStoreAlgorithmE0EdEvPT3_.has_recursion, 0
	.set _Z17warp_store_kernelILj256ELj16ELj32ELN6hipcub18WarpStoreAlgorithmE0EdEvPT3_.has_indirect_call, 0
	.section	.AMDGPU.csdata,"",@progbits
; Kernel info:
; codeLenInByte = 312
; TotalNumSgprs: 11
; NumVgprs: 8
; ScratchSize: 0
; MemoryBound: 1
; FloatMode: 240
; IeeeMode: 1
; LDSByteSize: 0 bytes/workgroup (compile time only)
; SGPRBlocks: 1
; VGPRBlocks: 1
; NumSGPRsForWavesPerEU: 11
; NumVGPRsForWavesPerEU: 8
; Occupancy: 10
; WaveLimiterHint : 1
; COMPUTE_PGM_RSRC2:SCRATCH_EN: 0
; COMPUTE_PGM_RSRC2:USER_SGPR: 6
; COMPUTE_PGM_RSRC2:TRAP_HANDLER: 0
; COMPUTE_PGM_RSRC2:TGID_X_EN: 1
; COMPUTE_PGM_RSRC2:TGID_Y_EN: 0
; COMPUTE_PGM_RSRC2:TGID_Z_EN: 0
; COMPUTE_PGM_RSRC2:TIDIG_COMP_CNT: 0
	.section	.text._Z17warp_store_kernelILj256ELj16ELj32ELN6hipcub18WarpStoreAlgorithmE1EdEvPT3_,"axG",@progbits,_Z17warp_store_kernelILj256ELj16ELj32ELN6hipcub18WarpStoreAlgorithmE1EdEvPT3_,comdat
	.protected	_Z17warp_store_kernelILj256ELj16ELj32ELN6hipcub18WarpStoreAlgorithmE1EdEvPT3_ ; -- Begin function _Z17warp_store_kernelILj256ELj16ELj32ELN6hipcub18WarpStoreAlgorithmE1EdEvPT3_
	.globl	_Z17warp_store_kernelILj256ELj16ELj32ELN6hipcub18WarpStoreAlgorithmE1EdEvPT3_
	.p2align	8
	.type	_Z17warp_store_kernelILj256ELj16ELj32ELN6hipcub18WarpStoreAlgorithmE1EdEvPT3_,@function
_Z17warp_store_kernelILj256ELj16ELj32ELN6hipcub18WarpStoreAlgorithmE1EdEvPT3_: ; @_Z17warp_store_kernelILj256ELj16ELj32ELN6hipcub18WarpStoreAlgorithmE1EdEvPT3_
; %bb.0:
	s_load_dwordx2 s[0:1], s[4:5], 0x0
	v_mbcnt_lo_u32_b32 v1, -1, 0
	v_lshlrev_b32_e32 v0, 4, v0
	v_mbcnt_hi_u32_b32 v1, -1, v1
	v_and_b32_e32 v0, 0xe00, v0
	v_and_b32_e32 v4, 31, v1
	v_lshl_or_b32 v0, s6, 12, v0
	v_mov_b32_e32 v1, 0
	v_lshlrev_b64 v[2:3], 3, v[0:1]
	s_waitcnt lgkmcnt(0)
	v_mov_b32_e32 v0, s1
	v_add_co_u32_e32 v2, vcc, s0, v2
	v_addc_co_u32_e32 v0, vcc, v0, v3, vcc
	v_lshlrev_b32_e32 v3, 3, v4
	v_add_co_u32_e32 v2, vcc, v2, v3
	v_addc_co_u32_e32 v3, vcc, 0, v0, vcc
	v_mov_b32_e32 v5, 0x3ff00000
	v_mov_b32_e32 v4, v1
	global_store_dwordx2 v[2:3], v[4:5], off offset:256
	v_mov_b32_e32 v5, 2.0
	global_store_dwordx2 v[2:3], v[4:5], off offset:512
	v_mov_b32_e32 v5, 0x40080000
	global_store_dwordx2 v[2:3], v[4:5], off offset:768
	v_mov_b32_e32 v5, 0x40100000
	global_store_dwordx2 v[2:3], v[4:5], off offset:1024
	v_mov_b32_e32 v5, 0x40140000
	global_store_dwordx2 v[2:3], v[4:5], off offset:1280
	v_mov_b32_e32 v5, 0x40180000
	global_store_dwordx2 v[2:3], v[4:5], off offset:1536
	v_mov_b32_e32 v5, 0x401c0000
	global_store_dwordx2 v[2:3], v[4:5], off offset:1792
	v_mov_b32_e32 v5, 0x40200000
	global_store_dwordx2 v[2:3], v[4:5], off offset:2048
	v_mov_b32_e32 v5, 0x40220000
	global_store_dwordx2 v[2:3], v[4:5], off offset:2304
	v_mov_b32_e32 v5, 0x40240000
	global_store_dwordx2 v[2:3], v[4:5], off offset:2560
	v_mov_b32_e32 v5, 0x40260000
	global_store_dwordx2 v[2:3], v[4:5], off offset:2816
	v_mov_b32_e32 v5, 0x40280000
	global_store_dwordx2 v[2:3], v[4:5], off offset:3072
	v_mov_b32_e32 v5, 0x402a0000
	global_store_dwordx2 v[2:3], v[4:5], off offset:3328
	v_mov_b32_e32 v5, 0x402c0000
	v_mov_b32_e32 v0, v1
	global_store_dwordx2 v[2:3], v[4:5], off offset:3584
	v_mov_b32_e32 v5, 0x402e0000
	global_store_dwordx2 v[2:3], v[0:1], off
	global_store_dwordx2 v[2:3], v[4:5], off offset:3840
	s_endpgm
	.section	.rodata,"a",@progbits
	.p2align	6, 0x0
	.amdhsa_kernel _Z17warp_store_kernelILj256ELj16ELj32ELN6hipcub18WarpStoreAlgorithmE1EdEvPT3_
		.amdhsa_group_segment_fixed_size 0
		.amdhsa_private_segment_fixed_size 0
		.amdhsa_kernarg_size 8
		.amdhsa_user_sgpr_count 6
		.amdhsa_user_sgpr_private_segment_buffer 1
		.amdhsa_user_sgpr_dispatch_ptr 0
		.amdhsa_user_sgpr_queue_ptr 0
		.amdhsa_user_sgpr_kernarg_segment_ptr 1
		.amdhsa_user_sgpr_dispatch_id 0
		.amdhsa_user_sgpr_flat_scratch_init 0
		.amdhsa_user_sgpr_private_segment_size 0
		.amdhsa_uses_dynamic_stack 0
		.amdhsa_system_sgpr_private_segment_wavefront_offset 0
		.amdhsa_system_sgpr_workgroup_id_x 1
		.amdhsa_system_sgpr_workgroup_id_y 0
		.amdhsa_system_sgpr_workgroup_id_z 0
		.amdhsa_system_sgpr_workgroup_info 0
		.amdhsa_system_vgpr_workitem_id 0
		.amdhsa_next_free_vgpr 6
		.amdhsa_next_free_sgpr 7
		.amdhsa_reserve_vcc 1
		.amdhsa_reserve_flat_scratch 0
		.amdhsa_float_round_mode_32 0
		.amdhsa_float_round_mode_16_64 0
		.amdhsa_float_denorm_mode_32 3
		.amdhsa_float_denorm_mode_16_64 3
		.amdhsa_dx10_clamp 1
		.amdhsa_ieee_mode 1
		.amdhsa_fp16_overflow 0
		.amdhsa_exception_fp_ieee_invalid_op 0
		.amdhsa_exception_fp_denorm_src 0
		.amdhsa_exception_fp_ieee_div_zero 0
		.amdhsa_exception_fp_ieee_overflow 0
		.amdhsa_exception_fp_ieee_underflow 0
		.amdhsa_exception_fp_ieee_inexact 0
		.amdhsa_exception_int_div_zero 0
	.end_amdhsa_kernel
	.section	.text._Z17warp_store_kernelILj256ELj16ELj32ELN6hipcub18WarpStoreAlgorithmE1EdEvPT3_,"axG",@progbits,_Z17warp_store_kernelILj256ELj16ELj32ELN6hipcub18WarpStoreAlgorithmE1EdEvPT3_,comdat
.Lfunc_end28:
	.size	_Z17warp_store_kernelILj256ELj16ELj32ELN6hipcub18WarpStoreAlgorithmE1EdEvPT3_, .Lfunc_end28-_Z17warp_store_kernelILj256ELj16ELj32ELN6hipcub18WarpStoreAlgorithmE1EdEvPT3_
                                        ; -- End function
	.set _Z17warp_store_kernelILj256ELj16ELj32ELN6hipcub18WarpStoreAlgorithmE1EdEvPT3_.num_vgpr, 6
	.set _Z17warp_store_kernelILj256ELj16ELj32ELN6hipcub18WarpStoreAlgorithmE1EdEvPT3_.num_agpr, 0
	.set _Z17warp_store_kernelILj256ELj16ELj32ELN6hipcub18WarpStoreAlgorithmE1EdEvPT3_.numbered_sgpr, 7
	.set _Z17warp_store_kernelILj256ELj16ELj32ELN6hipcub18WarpStoreAlgorithmE1EdEvPT3_.num_named_barrier, 0
	.set _Z17warp_store_kernelILj256ELj16ELj32ELN6hipcub18WarpStoreAlgorithmE1EdEvPT3_.private_seg_size, 0
	.set _Z17warp_store_kernelILj256ELj16ELj32ELN6hipcub18WarpStoreAlgorithmE1EdEvPT3_.uses_vcc, 1
	.set _Z17warp_store_kernelILj256ELj16ELj32ELN6hipcub18WarpStoreAlgorithmE1EdEvPT3_.uses_flat_scratch, 0
	.set _Z17warp_store_kernelILj256ELj16ELj32ELN6hipcub18WarpStoreAlgorithmE1EdEvPT3_.has_dyn_sized_stack, 0
	.set _Z17warp_store_kernelILj256ELj16ELj32ELN6hipcub18WarpStoreAlgorithmE1EdEvPT3_.has_recursion, 0
	.set _Z17warp_store_kernelILj256ELj16ELj32ELN6hipcub18WarpStoreAlgorithmE1EdEvPT3_.has_indirect_call, 0
	.section	.AMDGPU.csdata,"",@progbits
; Kernel info:
; codeLenInByte = 344
; TotalNumSgprs: 11
; NumVgprs: 6
; ScratchSize: 0
; MemoryBound: 1
; FloatMode: 240
; IeeeMode: 1
; LDSByteSize: 0 bytes/workgroup (compile time only)
; SGPRBlocks: 1
; VGPRBlocks: 1
; NumSGPRsForWavesPerEU: 11
; NumVGPRsForWavesPerEU: 6
; Occupancy: 10
; WaveLimiterHint : 1
; COMPUTE_PGM_RSRC2:SCRATCH_EN: 0
; COMPUTE_PGM_RSRC2:USER_SGPR: 6
; COMPUTE_PGM_RSRC2:TRAP_HANDLER: 0
; COMPUTE_PGM_RSRC2:TGID_X_EN: 1
; COMPUTE_PGM_RSRC2:TGID_Y_EN: 0
; COMPUTE_PGM_RSRC2:TGID_Z_EN: 0
; COMPUTE_PGM_RSRC2:TIDIG_COMP_CNT: 0
	.section	.text._Z17warp_store_kernelILj256ELj16ELj32ELN6hipcub18WarpStoreAlgorithmE2EdEvPT3_,"axG",@progbits,_Z17warp_store_kernelILj256ELj16ELj32ELN6hipcub18WarpStoreAlgorithmE2EdEvPT3_,comdat
	.protected	_Z17warp_store_kernelILj256ELj16ELj32ELN6hipcub18WarpStoreAlgorithmE2EdEvPT3_ ; -- Begin function _Z17warp_store_kernelILj256ELj16ELj32ELN6hipcub18WarpStoreAlgorithmE2EdEvPT3_
	.globl	_Z17warp_store_kernelILj256ELj16ELj32ELN6hipcub18WarpStoreAlgorithmE2EdEvPT3_
	.p2align	8
	.type	_Z17warp_store_kernelILj256ELj16ELj32ELN6hipcub18WarpStoreAlgorithmE2EdEvPT3_,@function
_Z17warp_store_kernelILj256ELj16ELj32ELN6hipcub18WarpStoreAlgorithmE2EdEvPT3_: ; @_Z17warp_store_kernelILj256ELj16ELj32ELN6hipcub18WarpStoreAlgorithmE2EdEvPT3_
; %bb.0:
	s_load_dwordx2 s[0:1], s[4:5], 0x0
	v_lshlrev_b32_e32 v0, 4, v0
	v_mbcnt_lo_u32_b32 v1, -1, 0
	v_and_b32_e32 v0, 0xe00, v0
	v_mbcnt_hi_u32_b32 v4, -1, v1
	v_lshl_or_b32 v0, s6, 12, v0
	v_mov_b32_e32 v1, 0
	v_lshlrev_b64 v[2:3], 3, v[0:1]
	s_waitcnt lgkmcnt(0)
	v_mov_b32_e32 v0, s1
	v_add_co_u32_e32 v2, vcc, s0, v2
	v_addc_co_u32_e32 v0, vcc, v0, v3, vcc
	v_lshlrev_b32_e32 v3, 7, v4
	v_and_b32_e32 v3, 0xf80, v3
	v_add_co_u32_e32 v6, vcc, v2, v3
	v_addc_co_u32_e32 v7, vcc, 0, v0, vcc
	v_mov_b32_e32 v3, 0x3ff00000
	v_mov_b32_e32 v0, v1
	;; [unrolled: 1-line block ×3, first 2 shown]
	global_store_dwordx4 v[6:7], v[0:3], off
	v_mov_b32_e32 v5, 0x40080000
	v_mov_b32_e32 v3, 2.0
	v_mov_b32_e32 v4, v1
	global_store_dwordx4 v[6:7], v[2:5], off offset:16
	s_nop 0
	v_mov_b32_e32 v3, 0x40100000
	v_mov_b32_e32 v5, 0x40140000
	global_store_dwordx4 v[6:7], v[2:5], off offset:32
	s_nop 0
	v_mov_b32_e32 v3, 0x40180000
	;; [unrolled: 4-line block ×6, first 2 shown]
	v_mov_b32_e32 v5, 0x402e0000
	global_store_dwordx4 v[6:7], v[2:5], off offset:112
	s_endpgm
	.section	.rodata,"a",@progbits
	.p2align	6, 0x0
	.amdhsa_kernel _Z17warp_store_kernelILj256ELj16ELj32ELN6hipcub18WarpStoreAlgorithmE2EdEvPT3_
		.amdhsa_group_segment_fixed_size 0
		.amdhsa_private_segment_fixed_size 0
		.amdhsa_kernarg_size 8
		.amdhsa_user_sgpr_count 6
		.amdhsa_user_sgpr_private_segment_buffer 1
		.amdhsa_user_sgpr_dispatch_ptr 0
		.amdhsa_user_sgpr_queue_ptr 0
		.amdhsa_user_sgpr_kernarg_segment_ptr 1
		.amdhsa_user_sgpr_dispatch_id 0
		.amdhsa_user_sgpr_flat_scratch_init 0
		.amdhsa_user_sgpr_private_segment_size 0
		.amdhsa_uses_dynamic_stack 0
		.amdhsa_system_sgpr_private_segment_wavefront_offset 0
		.amdhsa_system_sgpr_workgroup_id_x 1
		.amdhsa_system_sgpr_workgroup_id_y 0
		.amdhsa_system_sgpr_workgroup_id_z 0
		.amdhsa_system_sgpr_workgroup_info 0
		.amdhsa_system_vgpr_workitem_id 0
		.amdhsa_next_free_vgpr 8
		.amdhsa_next_free_sgpr 7
		.amdhsa_reserve_vcc 1
		.amdhsa_reserve_flat_scratch 0
		.amdhsa_float_round_mode_32 0
		.amdhsa_float_round_mode_16_64 0
		.amdhsa_float_denorm_mode_32 3
		.amdhsa_float_denorm_mode_16_64 3
		.amdhsa_dx10_clamp 1
		.amdhsa_ieee_mode 1
		.amdhsa_fp16_overflow 0
		.amdhsa_exception_fp_ieee_invalid_op 0
		.amdhsa_exception_fp_denorm_src 0
		.amdhsa_exception_fp_ieee_div_zero 0
		.amdhsa_exception_fp_ieee_overflow 0
		.amdhsa_exception_fp_ieee_underflow 0
		.amdhsa_exception_fp_ieee_inexact 0
		.amdhsa_exception_int_div_zero 0
	.end_amdhsa_kernel
	.section	.text._Z17warp_store_kernelILj256ELj16ELj32ELN6hipcub18WarpStoreAlgorithmE2EdEvPT3_,"axG",@progbits,_Z17warp_store_kernelILj256ELj16ELj32ELN6hipcub18WarpStoreAlgorithmE2EdEvPT3_,comdat
.Lfunc_end29:
	.size	_Z17warp_store_kernelILj256ELj16ELj32ELN6hipcub18WarpStoreAlgorithmE2EdEvPT3_, .Lfunc_end29-_Z17warp_store_kernelILj256ELj16ELj32ELN6hipcub18WarpStoreAlgorithmE2EdEvPT3_
                                        ; -- End function
	.set _Z17warp_store_kernelILj256ELj16ELj32ELN6hipcub18WarpStoreAlgorithmE2EdEvPT3_.num_vgpr, 8
	.set _Z17warp_store_kernelILj256ELj16ELj32ELN6hipcub18WarpStoreAlgorithmE2EdEvPT3_.num_agpr, 0
	.set _Z17warp_store_kernelILj256ELj16ELj32ELN6hipcub18WarpStoreAlgorithmE2EdEvPT3_.numbered_sgpr, 7
	.set _Z17warp_store_kernelILj256ELj16ELj32ELN6hipcub18WarpStoreAlgorithmE2EdEvPT3_.num_named_barrier, 0
	.set _Z17warp_store_kernelILj256ELj16ELj32ELN6hipcub18WarpStoreAlgorithmE2EdEvPT3_.private_seg_size, 0
	.set _Z17warp_store_kernelILj256ELj16ELj32ELN6hipcub18WarpStoreAlgorithmE2EdEvPT3_.uses_vcc, 1
	.set _Z17warp_store_kernelILj256ELj16ELj32ELN6hipcub18WarpStoreAlgorithmE2EdEvPT3_.uses_flat_scratch, 0
	.set _Z17warp_store_kernelILj256ELj16ELj32ELN6hipcub18WarpStoreAlgorithmE2EdEvPT3_.has_dyn_sized_stack, 0
	.set _Z17warp_store_kernelILj256ELj16ELj32ELN6hipcub18WarpStoreAlgorithmE2EdEvPT3_.has_recursion, 0
	.set _Z17warp_store_kernelILj256ELj16ELj32ELN6hipcub18WarpStoreAlgorithmE2EdEvPT3_.has_indirect_call, 0
	.section	.AMDGPU.csdata,"",@progbits
; Kernel info:
; codeLenInByte = 312
; TotalNumSgprs: 11
; NumVgprs: 8
; ScratchSize: 0
; MemoryBound: 1
; FloatMode: 240
; IeeeMode: 1
; LDSByteSize: 0 bytes/workgroup (compile time only)
; SGPRBlocks: 1
; VGPRBlocks: 1
; NumSGPRsForWavesPerEU: 11
; NumVGPRsForWavesPerEU: 8
; Occupancy: 10
; WaveLimiterHint : 1
; COMPUTE_PGM_RSRC2:SCRATCH_EN: 0
; COMPUTE_PGM_RSRC2:USER_SGPR: 6
; COMPUTE_PGM_RSRC2:TRAP_HANDLER: 0
; COMPUTE_PGM_RSRC2:TGID_X_EN: 1
; COMPUTE_PGM_RSRC2:TGID_Y_EN: 0
; COMPUTE_PGM_RSRC2:TGID_Z_EN: 0
; COMPUTE_PGM_RSRC2:TIDIG_COMP_CNT: 0
	.section	.text._Z17warp_store_kernelILj256ELj16ELj32ELN6hipcub18WarpStoreAlgorithmE3EdEvPT3_,"axG",@progbits,_Z17warp_store_kernelILj256ELj16ELj32ELN6hipcub18WarpStoreAlgorithmE3EdEvPT3_,comdat
	.protected	_Z17warp_store_kernelILj256ELj16ELj32ELN6hipcub18WarpStoreAlgorithmE3EdEvPT3_ ; -- Begin function _Z17warp_store_kernelILj256ELj16ELj32ELN6hipcub18WarpStoreAlgorithmE3EdEvPT3_
	.globl	_Z17warp_store_kernelILj256ELj16ELj32ELN6hipcub18WarpStoreAlgorithmE3EdEvPT3_
	.p2align	8
	.type	_Z17warp_store_kernelILj256ELj16ELj32ELN6hipcub18WarpStoreAlgorithmE3EdEvPT3_,@function
_Z17warp_store_kernelILj256ELj16ELj32ELN6hipcub18WarpStoreAlgorithmE3EdEvPT3_: ; @_Z17warp_store_kernelILj256ELj16ELj32ELN6hipcub18WarpStoreAlgorithmE3EdEvPT3_
; %bb.0:
	s_load_dwordx2 s[0:1], s[4:5], 0x0
	v_lshrrev_b32_e32 v4, 5, v0
	v_mbcnt_lo_u32_b32 v0, -1, 0
	v_mbcnt_hi_u32_b32 v0, -1, v0
	s_lshl_b32 s2, s6, 12
	v_and_b32_e32 v32, 31, v0
	v_lshl_or_b32 v0, v4, 9, s2
	v_mov_b32_e32 v1, 0
	v_lshlrev_b64 v[2:3], 3, v[0:1]
	s_waitcnt lgkmcnt(0)
	v_mov_b32_e32 v0, s1
	v_add_co_u32_e32 v33, vcc, s0, v2
	v_addc_co_u32_e32 v34, vcc, v0, v3, vcc
	v_lshlrev_b32_e32 v0, 7, v32
	v_lshl_or_b32 v6, v4, 12, v0
	v_mov_b32_e32 v3, 0x3ff00000
	v_mov_b32_e32 v0, v1
	;; [unrolled: 1-line block ×3, first 2 shown]
	ds_write_b128 v6, v[0:3]
	v_mov_b32_e32 v3, 2.0
	v_mov_b32_e32 v5, 0x40080000
	v_mov_b32_e32 v4, v1
	ds_write_b128 v6, v[2:5] offset:16
	v_mov_b32_e32 v3, 0x40100000
	v_mov_b32_e32 v5, 0x40140000
	ds_write_b128 v6, v[2:5] offset:32
	;; [unrolled: 3-line block ×4, first 2 shown]
	v_mov_b32_e32 v3, 0x40240000
	v_mov_b32_e32 v5, 0x40260000
	s_movk_i32 s0, 0xff88
	ds_write_b128 v6, v[2:5] offset:80
	v_mov_b32_e32 v3, 0x40280000
	v_mov_b32_e32 v5, 0x402a0000
	v_mad_i32_i24 v16, v32, s0, v6
	ds_write_b128 v6, v[2:5] offset:96
	v_mov_b32_e32 v3, 0x402c0000
	v_mov_b32_e32 v5, 0x402e0000
	v_add_u32_e32 v28, 0x800, v16
	ds_write_b128 v6, v[2:5] offset:112
	; wave barrier
	ds_read2_b64 v[0:3], v16 offset1:32
	ds_read2_b64 v[4:7], v16 offset0:64 offset1:96
	ds_read2_b64 v[8:11], v16 offset0:128 offset1:160
	;; [unrolled: 1-line block ×3, first 2 shown]
	ds_read2_b64 v[16:19], v28 offset1:32
	ds_read2_b64 v[20:23], v28 offset0:64 offset1:96
	ds_read2_b64 v[24:27], v28 offset0:128 offset1:160
	ds_read2_b64 v[28:31], v28 offset0:192 offset1:224
	v_lshlrev_b32_e32 v32, 3, v32
	v_add_co_u32_e32 v32, vcc, v33, v32
	v_addc_co_u32_e32 v33, vcc, 0, v34, vcc
	s_waitcnt lgkmcnt(7)
	global_store_dwordx2 v[32:33], v[0:1], off
	global_store_dwordx2 v[32:33], v[2:3], off offset:256
	s_waitcnt lgkmcnt(6)
	global_store_dwordx2 v[32:33], v[4:5], off offset:512
	global_store_dwordx2 v[32:33], v[6:7], off offset:768
	s_waitcnt lgkmcnt(5)
	global_store_dwordx2 v[32:33], v[8:9], off offset:1024
	;; [unrolled: 3-line block ×7, first 2 shown]
	global_store_dwordx2 v[32:33], v[30:31], off offset:3840
	s_endpgm
	.section	.rodata,"a",@progbits
	.p2align	6, 0x0
	.amdhsa_kernel _Z17warp_store_kernelILj256ELj16ELj32ELN6hipcub18WarpStoreAlgorithmE3EdEvPT3_
		.amdhsa_group_segment_fixed_size 32768
		.amdhsa_private_segment_fixed_size 0
		.amdhsa_kernarg_size 8
		.amdhsa_user_sgpr_count 6
		.amdhsa_user_sgpr_private_segment_buffer 1
		.amdhsa_user_sgpr_dispatch_ptr 0
		.amdhsa_user_sgpr_queue_ptr 0
		.amdhsa_user_sgpr_kernarg_segment_ptr 1
		.amdhsa_user_sgpr_dispatch_id 0
		.amdhsa_user_sgpr_flat_scratch_init 0
		.amdhsa_user_sgpr_private_segment_size 0
		.amdhsa_uses_dynamic_stack 0
		.amdhsa_system_sgpr_private_segment_wavefront_offset 0
		.amdhsa_system_sgpr_workgroup_id_x 1
		.amdhsa_system_sgpr_workgroup_id_y 0
		.amdhsa_system_sgpr_workgroup_id_z 0
		.amdhsa_system_sgpr_workgroup_info 0
		.amdhsa_system_vgpr_workitem_id 0
		.amdhsa_next_free_vgpr 85
		.amdhsa_next_free_sgpr 98
		.amdhsa_reserve_vcc 1
		.amdhsa_reserve_flat_scratch 0
		.amdhsa_float_round_mode_32 0
		.amdhsa_float_round_mode_16_64 0
		.amdhsa_float_denorm_mode_32 3
		.amdhsa_float_denorm_mode_16_64 3
		.amdhsa_dx10_clamp 1
		.amdhsa_ieee_mode 1
		.amdhsa_fp16_overflow 0
		.amdhsa_exception_fp_ieee_invalid_op 0
		.amdhsa_exception_fp_denorm_src 0
		.amdhsa_exception_fp_ieee_div_zero 0
		.amdhsa_exception_fp_ieee_overflow 0
		.amdhsa_exception_fp_ieee_underflow 0
		.amdhsa_exception_fp_ieee_inexact 0
		.amdhsa_exception_int_div_zero 0
	.end_amdhsa_kernel
	.section	.text._Z17warp_store_kernelILj256ELj16ELj32ELN6hipcub18WarpStoreAlgorithmE3EdEvPT3_,"axG",@progbits,_Z17warp_store_kernelILj256ELj16ELj32ELN6hipcub18WarpStoreAlgorithmE3EdEvPT3_,comdat
.Lfunc_end30:
	.size	_Z17warp_store_kernelILj256ELj16ELj32ELN6hipcub18WarpStoreAlgorithmE3EdEvPT3_, .Lfunc_end30-_Z17warp_store_kernelILj256ELj16ELj32ELN6hipcub18WarpStoreAlgorithmE3EdEvPT3_
                                        ; -- End function
	.set _Z17warp_store_kernelILj256ELj16ELj32ELN6hipcub18WarpStoreAlgorithmE3EdEvPT3_.num_vgpr, 35
	.set _Z17warp_store_kernelILj256ELj16ELj32ELN6hipcub18WarpStoreAlgorithmE3EdEvPT3_.num_agpr, 0
	.set _Z17warp_store_kernelILj256ELj16ELj32ELN6hipcub18WarpStoreAlgorithmE3EdEvPT3_.numbered_sgpr, 7
	.set _Z17warp_store_kernelILj256ELj16ELj32ELN6hipcub18WarpStoreAlgorithmE3EdEvPT3_.num_named_barrier, 0
	.set _Z17warp_store_kernelILj256ELj16ELj32ELN6hipcub18WarpStoreAlgorithmE3EdEvPT3_.private_seg_size, 0
	.set _Z17warp_store_kernelILj256ELj16ELj32ELN6hipcub18WarpStoreAlgorithmE3EdEvPT3_.uses_vcc, 1
	.set _Z17warp_store_kernelILj256ELj16ELj32ELN6hipcub18WarpStoreAlgorithmE3EdEvPT3_.uses_flat_scratch, 0
	.set _Z17warp_store_kernelILj256ELj16ELj32ELN6hipcub18WarpStoreAlgorithmE3EdEvPT3_.has_dyn_sized_stack, 0
	.set _Z17warp_store_kernelILj256ELj16ELj32ELN6hipcub18WarpStoreAlgorithmE3EdEvPT3_.has_recursion, 0
	.set _Z17warp_store_kernelILj256ELj16ELj32ELN6hipcub18WarpStoreAlgorithmE3EdEvPT3_.has_indirect_call, 0
	.section	.AMDGPU.csdata,"",@progbits
; Kernel info:
; codeLenInByte = 536
; TotalNumSgprs: 11
; NumVgprs: 35
; ScratchSize: 0
; MemoryBound: 1
; FloatMode: 240
; IeeeMode: 1
; LDSByteSize: 32768 bytes/workgroup (compile time only)
; SGPRBlocks: 12
; VGPRBlocks: 21
; NumSGPRsForWavesPerEU: 102
; NumVGPRsForWavesPerEU: 85
; Occupancy: 2
; WaveLimiterHint : 1
; COMPUTE_PGM_RSRC2:SCRATCH_EN: 0
; COMPUTE_PGM_RSRC2:USER_SGPR: 6
; COMPUTE_PGM_RSRC2:TRAP_HANDLER: 0
; COMPUTE_PGM_RSRC2:TGID_X_EN: 1
; COMPUTE_PGM_RSRC2:TGID_Y_EN: 0
; COMPUTE_PGM_RSRC2:TGID_Z_EN: 0
; COMPUTE_PGM_RSRC2:TIDIG_COMP_CNT: 0
	.section	.text._Z17warp_store_kernelILj256ELj32ELj32ELN6hipcub18WarpStoreAlgorithmE0EdEvPT3_,"axG",@progbits,_Z17warp_store_kernelILj256ELj32ELj32ELN6hipcub18WarpStoreAlgorithmE0EdEvPT3_,comdat
	.protected	_Z17warp_store_kernelILj256ELj32ELj32ELN6hipcub18WarpStoreAlgorithmE0EdEvPT3_ ; -- Begin function _Z17warp_store_kernelILj256ELj32ELj32ELN6hipcub18WarpStoreAlgorithmE0EdEvPT3_
	.globl	_Z17warp_store_kernelILj256ELj32ELj32ELN6hipcub18WarpStoreAlgorithmE0EdEvPT3_
	.p2align	8
	.type	_Z17warp_store_kernelILj256ELj32ELj32ELN6hipcub18WarpStoreAlgorithmE0EdEvPT3_,@function
_Z17warp_store_kernelILj256ELj32ELj32ELN6hipcub18WarpStoreAlgorithmE0EdEvPT3_: ; @_Z17warp_store_kernelILj256ELj32ELj32ELN6hipcub18WarpStoreAlgorithmE0EdEvPT3_
; %bb.0:
	s_load_dwordx2 s[0:1], s[4:5], 0x0
	v_lshlrev_b32_e32 v0, 5, v0
	v_mbcnt_lo_u32_b32 v1, -1, 0
	v_and_b32_e32 v0, 0x1c00, v0
	v_mbcnt_hi_u32_b32 v4, -1, v1
	v_lshl_or_b32 v0, s6, 13, v0
	v_mov_b32_e32 v1, 0
	v_lshlrev_b64 v[2:3], 3, v[0:1]
	s_waitcnt lgkmcnt(0)
	v_mov_b32_e32 v0, s1
	v_add_co_u32_e32 v2, vcc, s0, v2
	v_addc_co_u32_e32 v0, vcc, v0, v3, vcc
	v_lshlrev_b32_e32 v3, 8, v4
	v_and_b32_e32 v3, 0x1f00, v3
	v_add_co_u32_e32 v6, vcc, v2, v3
	v_addc_co_u32_e32 v7, vcc, 0, v0, vcc
	v_mov_b32_e32 v3, 0x3ff00000
	v_mov_b32_e32 v0, v1
	;; [unrolled: 1-line block ×3, first 2 shown]
	global_store_dwordx4 v[6:7], v[0:3], off
	v_mov_b32_e32 v5, 0x40080000
	v_mov_b32_e32 v3, 2.0
	v_mov_b32_e32 v4, v1
	global_store_dwordx4 v[6:7], v[2:5], off offset:16
	s_nop 0
	v_mov_b32_e32 v3, 0x40100000
	v_mov_b32_e32 v5, 0x40140000
	global_store_dwordx4 v[6:7], v[2:5], off offset:32
	s_nop 0
	v_mov_b32_e32 v3, 0x40180000
	;; [unrolled: 4-line block ×14, first 2 shown]
	v_mov_b32_e32 v5, 0x403f0000
	global_store_dwordx4 v[6:7], v[2:5], off offset:240
	s_endpgm
	.section	.rodata,"a",@progbits
	.p2align	6, 0x0
	.amdhsa_kernel _Z17warp_store_kernelILj256ELj32ELj32ELN6hipcub18WarpStoreAlgorithmE0EdEvPT3_
		.amdhsa_group_segment_fixed_size 0
		.amdhsa_private_segment_fixed_size 0
		.amdhsa_kernarg_size 8
		.amdhsa_user_sgpr_count 6
		.amdhsa_user_sgpr_private_segment_buffer 1
		.amdhsa_user_sgpr_dispatch_ptr 0
		.amdhsa_user_sgpr_queue_ptr 0
		.amdhsa_user_sgpr_kernarg_segment_ptr 1
		.amdhsa_user_sgpr_dispatch_id 0
		.amdhsa_user_sgpr_flat_scratch_init 0
		.amdhsa_user_sgpr_private_segment_size 0
		.amdhsa_uses_dynamic_stack 0
		.amdhsa_system_sgpr_private_segment_wavefront_offset 0
		.amdhsa_system_sgpr_workgroup_id_x 1
		.amdhsa_system_sgpr_workgroup_id_y 0
		.amdhsa_system_sgpr_workgroup_id_z 0
		.amdhsa_system_sgpr_workgroup_info 0
		.amdhsa_system_vgpr_workitem_id 0
		.amdhsa_next_free_vgpr 8
		.amdhsa_next_free_sgpr 7
		.amdhsa_reserve_vcc 1
		.amdhsa_reserve_flat_scratch 0
		.amdhsa_float_round_mode_32 0
		.amdhsa_float_round_mode_16_64 0
		.amdhsa_float_denorm_mode_32 3
		.amdhsa_float_denorm_mode_16_64 3
		.amdhsa_dx10_clamp 1
		.amdhsa_ieee_mode 1
		.amdhsa_fp16_overflow 0
		.amdhsa_exception_fp_ieee_invalid_op 0
		.amdhsa_exception_fp_denorm_src 0
		.amdhsa_exception_fp_ieee_div_zero 0
		.amdhsa_exception_fp_ieee_overflow 0
		.amdhsa_exception_fp_ieee_underflow 0
		.amdhsa_exception_fp_ieee_inexact 0
		.amdhsa_exception_int_div_zero 0
	.end_amdhsa_kernel
	.section	.text._Z17warp_store_kernelILj256ELj32ELj32ELN6hipcub18WarpStoreAlgorithmE0EdEvPT3_,"axG",@progbits,_Z17warp_store_kernelILj256ELj32ELj32ELN6hipcub18WarpStoreAlgorithmE0EdEvPT3_,comdat
.Lfunc_end31:
	.size	_Z17warp_store_kernelILj256ELj32ELj32ELN6hipcub18WarpStoreAlgorithmE0EdEvPT3_, .Lfunc_end31-_Z17warp_store_kernelILj256ELj32ELj32ELN6hipcub18WarpStoreAlgorithmE0EdEvPT3_
                                        ; -- End function
	.set _Z17warp_store_kernelILj256ELj32ELj32ELN6hipcub18WarpStoreAlgorithmE0EdEvPT3_.num_vgpr, 8
	.set _Z17warp_store_kernelILj256ELj32ELj32ELN6hipcub18WarpStoreAlgorithmE0EdEvPT3_.num_agpr, 0
	.set _Z17warp_store_kernelILj256ELj32ELj32ELN6hipcub18WarpStoreAlgorithmE0EdEvPT3_.numbered_sgpr, 7
	.set _Z17warp_store_kernelILj256ELj32ELj32ELN6hipcub18WarpStoreAlgorithmE0EdEvPT3_.num_named_barrier, 0
	.set _Z17warp_store_kernelILj256ELj32ELj32ELN6hipcub18WarpStoreAlgorithmE0EdEvPT3_.private_seg_size, 0
	.set _Z17warp_store_kernelILj256ELj32ELj32ELN6hipcub18WarpStoreAlgorithmE0EdEvPT3_.uses_vcc, 1
	.set _Z17warp_store_kernelILj256ELj32ELj32ELN6hipcub18WarpStoreAlgorithmE0EdEvPT3_.uses_flat_scratch, 0
	.set _Z17warp_store_kernelILj256ELj32ELj32ELN6hipcub18WarpStoreAlgorithmE0EdEvPT3_.has_dyn_sized_stack, 0
	.set _Z17warp_store_kernelILj256ELj32ELj32ELN6hipcub18WarpStoreAlgorithmE0EdEvPT3_.has_recursion, 0
	.set _Z17warp_store_kernelILj256ELj32ELj32ELN6hipcub18WarpStoreAlgorithmE0EdEvPT3_.has_indirect_call, 0
	.section	.AMDGPU.csdata,"",@progbits
; Kernel info:
; codeLenInByte = 536
; TotalNumSgprs: 11
; NumVgprs: 8
; ScratchSize: 0
; MemoryBound: 1
; FloatMode: 240
; IeeeMode: 1
; LDSByteSize: 0 bytes/workgroup (compile time only)
; SGPRBlocks: 1
; VGPRBlocks: 1
; NumSGPRsForWavesPerEU: 11
; NumVGPRsForWavesPerEU: 8
; Occupancy: 10
; WaveLimiterHint : 1
; COMPUTE_PGM_RSRC2:SCRATCH_EN: 0
; COMPUTE_PGM_RSRC2:USER_SGPR: 6
; COMPUTE_PGM_RSRC2:TRAP_HANDLER: 0
; COMPUTE_PGM_RSRC2:TGID_X_EN: 1
; COMPUTE_PGM_RSRC2:TGID_Y_EN: 0
; COMPUTE_PGM_RSRC2:TGID_Z_EN: 0
; COMPUTE_PGM_RSRC2:TIDIG_COMP_CNT: 0
	.section	.text._Z17warp_store_kernelILj256ELj32ELj32ELN6hipcub18WarpStoreAlgorithmE1EdEvPT3_,"axG",@progbits,_Z17warp_store_kernelILj256ELj32ELj32ELN6hipcub18WarpStoreAlgorithmE1EdEvPT3_,comdat
	.protected	_Z17warp_store_kernelILj256ELj32ELj32ELN6hipcub18WarpStoreAlgorithmE1EdEvPT3_ ; -- Begin function _Z17warp_store_kernelILj256ELj32ELj32ELN6hipcub18WarpStoreAlgorithmE1EdEvPT3_
	.globl	_Z17warp_store_kernelILj256ELj32ELj32ELN6hipcub18WarpStoreAlgorithmE1EdEvPT3_
	.p2align	8
	.type	_Z17warp_store_kernelILj256ELj32ELj32ELN6hipcub18WarpStoreAlgorithmE1EdEvPT3_,@function
_Z17warp_store_kernelILj256ELj32ELj32ELN6hipcub18WarpStoreAlgorithmE1EdEvPT3_: ; @_Z17warp_store_kernelILj256ELj32ELj32ELN6hipcub18WarpStoreAlgorithmE1EdEvPT3_
; %bb.0:
	s_load_dwordx2 s[0:1], s[4:5], 0x0
	v_mbcnt_lo_u32_b32 v1, -1, 0
	v_lshlrev_b32_e32 v0, 5, v0
	v_mbcnt_hi_u32_b32 v1, -1, v1
	v_and_b32_e32 v0, 0x1c00, v0
	v_and_b32_e32 v4, 31, v1
	v_lshl_or_b32 v0, s6, 13, v0
	v_mov_b32_e32 v1, 0
	v_lshlrev_b64 v[2:3], 3, v[0:1]
	s_waitcnt lgkmcnt(0)
	v_mov_b32_e32 v0, s1
	v_add_co_u32_e32 v2, vcc, s0, v2
	v_addc_co_u32_e32 v0, vcc, v0, v3, vcc
	v_lshlrev_b32_e32 v3, 3, v4
	v_add_co_u32_e32 v2, vcc, v2, v3
	v_addc_co_u32_e32 v3, vcc, 0, v0, vcc
	v_mov_b32_e32 v5, 0x3ff00000
	v_mov_b32_e32 v4, v1
	global_store_dwordx2 v[2:3], v[4:5], off offset:256
	v_mov_b32_e32 v5, 2.0
	global_store_dwordx2 v[2:3], v[4:5], off offset:512
	v_mov_b32_e32 v5, 0x40080000
	global_store_dwordx2 v[2:3], v[4:5], off offset:768
	v_mov_b32_e32 v5, 0x40100000
	;; [unrolled: 2-line block ×12, first 2 shown]
	v_mov_b32_e32 v0, v1
	global_store_dwordx2 v[2:3], v[4:5], off offset:3584
	v_mov_b32_e32 v5, 0x402e0000
	s_movk_i32 s0, 0x1000
	global_store_dwordx2 v[2:3], v[0:1], off
	global_store_dwordx2 v[2:3], v[4:5], off offset:3840
	v_add_co_u32_e32 v2, vcc, s0, v2
	v_addc_co_u32_e32 v3, vcc, 0, v3, vcc
	v_mov_b32_e32 v5, 0x40300000
	global_store_dwordx2 v[2:3], v[4:5], off
	v_mov_b32_e32 v5, 0x40310000
	global_store_dwordx2 v[2:3], v[4:5], off offset:256
	v_mov_b32_e32 v5, 0x40320000
	global_store_dwordx2 v[2:3], v[4:5], off offset:512
	;; [unrolled: 2-line block ×15, first 2 shown]
	s_endpgm
	.section	.rodata,"a",@progbits
	.p2align	6, 0x0
	.amdhsa_kernel _Z17warp_store_kernelILj256ELj32ELj32ELN6hipcub18WarpStoreAlgorithmE1EdEvPT3_
		.amdhsa_group_segment_fixed_size 0
		.amdhsa_private_segment_fixed_size 0
		.amdhsa_kernarg_size 8
		.amdhsa_user_sgpr_count 6
		.amdhsa_user_sgpr_private_segment_buffer 1
		.amdhsa_user_sgpr_dispatch_ptr 0
		.amdhsa_user_sgpr_queue_ptr 0
		.amdhsa_user_sgpr_kernarg_segment_ptr 1
		.amdhsa_user_sgpr_dispatch_id 0
		.amdhsa_user_sgpr_flat_scratch_init 0
		.amdhsa_user_sgpr_private_segment_size 0
		.amdhsa_uses_dynamic_stack 0
		.amdhsa_system_sgpr_private_segment_wavefront_offset 0
		.amdhsa_system_sgpr_workgroup_id_x 1
		.amdhsa_system_sgpr_workgroup_id_y 0
		.amdhsa_system_sgpr_workgroup_id_z 0
		.amdhsa_system_sgpr_workgroup_info 0
		.amdhsa_system_vgpr_workitem_id 0
		.amdhsa_next_free_vgpr 6
		.amdhsa_next_free_sgpr 7
		.amdhsa_reserve_vcc 1
		.amdhsa_reserve_flat_scratch 0
		.amdhsa_float_round_mode_32 0
		.amdhsa_float_round_mode_16_64 0
		.amdhsa_float_denorm_mode_32 3
		.amdhsa_float_denorm_mode_16_64 3
		.amdhsa_dx10_clamp 1
		.amdhsa_ieee_mode 1
		.amdhsa_fp16_overflow 0
		.amdhsa_exception_fp_ieee_invalid_op 0
		.amdhsa_exception_fp_denorm_src 0
		.amdhsa_exception_fp_ieee_div_zero 0
		.amdhsa_exception_fp_ieee_overflow 0
		.amdhsa_exception_fp_ieee_underflow 0
		.amdhsa_exception_fp_ieee_inexact 0
		.amdhsa_exception_int_div_zero 0
	.end_amdhsa_kernel
	.section	.text._Z17warp_store_kernelILj256ELj32ELj32ELN6hipcub18WarpStoreAlgorithmE1EdEvPT3_,"axG",@progbits,_Z17warp_store_kernelILj256ELj32ELj32ELN6hipcub18WarpStoreAlgorithmE1EdEvPT3_,comdat
.Lfunc_end32:
	.size	_Z17warp_store_kernelILj256ELj32ELj32ELN6hipcub18WarpStoreAlgorithmE1EdEvPT3_, .Lfunc_end32-_Z17warp_store_kernelILj256ELj32ELj32ELN6hipcub18WarpStoreAlgorithmE1EdEvPT3_
                                        ; -- End function
	.set _Z17warp_store_kernelILj256ELj32ELj32ELN6hipcub18WarpStoreAlgorithmE1EdEvPT3_.num_vgpr, 6
	.set _Z17warp_store_kernelILj256ELj32ELj32ELN6hipcub18WarpStoreAlgorithmE1EdEvPT3_.num_agpr, 0
	.set _Z17warp_store_kernelILj256ELj32ELj32ELN6hipcub18WarpStoreAlgorithmE1EdEvPT3_.numbered_sgpr, 7
	.set _Z17warp_store_kernelILj256ELj32ELj32ELN6hipcub18WarpStoreAlgorithmE1EdEvPT3_.num_named_barrier, 0
	.set _Z17warp_store_kernelILj256ELj32ELj32ELN6hipcub18WarpStoreAlgorithmE1EdEvPT3_.private_seg_size, 0
	.set _Z17warp_store_kernelILj256ELj32ELj32ELN6hipcub18WarpStoreAlgorithmE1EdEvPT3_.uses_vcc, 1
	.set _Z17warp_store_kernelILj256ELj32ELj32ELN6hipcub18WarpStoreAlgorithmE1EdEvPT3_.uses_flat_scratch, 0
	.set _Z17warp_store_kernelILj256ELj32ELj32ELN6hipcub18WarpStoreAlgorithmE1EdEvPT3_.has_dyn_sized_stack, 0
	.set _Z17warp_store_kernelILj256ELj32ELj32ELN6hipcub18WarpStoreAlgorithmE1EdEvPT3_.has_recursion, 0
	.set _Z17warp_store_kernelILj256ELj32ELj32ELN6hipcub18WarpStoreAlgorithmE1EdEvPT3_.has_indirect_call, 0
	.section	.AMDGPU.csdata,"",@progbits
; Kernel info:
; codeLenInByte = 612
; TotalNumSgprs: 11
; NumVgprs: 6
; ScratchSize: 0
; MemoryBound: 1
; FloatMode: 240
; IeeeMode: 1
; LDSByteSize: 0 bytes/workgroup (compile time only)
; SGPRBlocks: 1
; VGPRBlocks: 1
; NumSGPRsForWavesPerEU: 11
; NumVGPRsForWavesPerEU: 6
; Occupancy: 10
; WaveLimiterHint : 1
; COMPUTE_PGM_RSRC2:SCRATCH_EN: 0
; COMPUTE_PGM_RSRC2:USER_SGPR: 6
; COMPUTE_PGM_RSRC2:TRAP_HANDLER: 0
; COMPUTE_PGM_RSRC2:TGID_X_EN: 1
; COMPUTE_PGM_RSRC2:TGID_Y_EN: 0
; COMPUTE_PGM_RSRC2:TGID_Z_EN: 0
; COMPUTE_PGM_RSRC2:TIDIG_COMP_CNT: 0
	.section	.text._Z17warp_store_kernelILj256ELj32ELj32ELN6hipcub18WarpStoreAlgorithmE2EdEvPT3_,"axG",@progbits,_Z17warp_store_kernelILj256ELj32ELj32ELN6hipcub18WarpStoreAlgorithmE2EdEvPT3_,comdat
	.protected	_Z17warp_store_kernelILj256ELj32ELj32ELN6hipcub18WarpStoreAlgorithmE2EdEvPT3_ ; -- Begin function _Z17warp_store_kernelILj256ELj32ELj32ELN6hipcub18WarpStoreAlgorithmE2EdEvPT3_
	.globl	_Z17warp_store_kernelILj256ELj32ELj32ELN6hipcub18WarpStoreAlgorithmE2EdEvPT3_
	.p2align	8
	.type	_Z17warp_store_kernelILj256ELj32ELj32ELN6hipcub18WarpStoreAlgorithmE2EdEvPT3_,@function
_Z17warp_store_kernelILj256ELj32ELj32ELN6hipcub18WarpStoreAlgorithmE2EdEvPT3_: ; @_Z17warp_store_kernelILj256ELj32ELj32ELN6hipcub18WarpStoreAlgorithmE2EdEvPT3_
; %bb.0:
	s_load_dwordx2 s[0:1], s[4:5], 0x0
	v_lshlrev_b32_e32 v0, 5, v0
	v_mbcnt_lo_u32_b32 v1, -1, 0
	v_and_b32_e32 v0, 0x1c00, v0
	v_mbcnt_hi_u32_b32 v4, -1, v1
	v_lshl_or_b32 v0, s6, 13, v0
	v_mov_b32_e32 v1, 0
	v_lshlrev_b64 v[2:3], 3, v[0:1]
	s_waitcnt lgkmcnt(0)
	v_mov_b32_e32 v0, s1
	v_add_co_u32_e32 v2, vcc, s0, v2
	v_addc_co_u32_e32 v0, vcc, v0, v3, vcc
	v_lshlrev_b32_e32 v3, 8, v4
	v_and_b32_e32 v3, 0x1f00, v3
	v_add_co_u32_e32 v6, vcc, v2, v3
	v_addc_co_u32_e32 v7, vcc, 0, v0, vcc
	v_mov_b32_e32 v3, 0x3ff00000
	v_mov_b32_e32 v0, v1
	;; [unrolled: 1-line block ×3, first 2 shown]
	global_store_dwordx4 v[6:7], v[0:3], off
	v_mov_b32_e32 v5, 0x40080000
	v_mov_b32_e32 v3, 2.0
	v_mov_b32_e32 v4, v1
	global_store_dwordx4 v[6:7], v[2:5], off offset:16
	s_nop 0
	v_mov_b32_e32 v3, 0x40100000
	v_mov_b32_e32 v5, 0x40140000
	global_store_dwordx4 v[6:7], v[2:5], off offset:32
	s_nop 0
	v_mov_b32_e32 v3, 0x40180000
	;; [unrolled: 4-line block ×14, first 2 shown]
	v_mov_b32_e32 v5, 0x403f0000
	global_store_dwordx4 v[6:7], v[2:5], off offset:240
	s_endpgm
	.section	.rodata,"a",@progbits
	.p2align	6, 0x0
	.amdhsa_kernel _Z17warp_store_kernelILj256ELj32ELj32ELN6hipcub18WarpStoreAlgorithmE2EdEvPT3_
		.amdhsa_group_segment_fixed_size 0
		.amdhsa_private_segment_fixed_size 0
		.amdhsa_kernarg_size 8
		.amdhsa_user_sgpr_count 6
		.amdhsa_user_sgpr_private_segment_buffer 1
		.amdhsa_user_sgpr_dispatch_ptr 0
		.amdhsa_user_sgpr_queue_ptr 0
		.amdhsa_user_sgpr_kernarg_segment_ptr 1
		.amdhsa_user_sgpr_dispatch_id 0
		.amdhsa_user_sgpr_flat_scratch_init 0
		.amdhsa_user_sgpr_private_segment_size 0
		.amdhsa_uses_dynamic_stack 0
		.amdhsa_system_sgpr_private_segment_wavefront_offset 0
		.amdhsa_system_sgpr_workgroup_id_x 1
		.amdhsa_system_sgpr_workgroup_id_y 0
		.amdhsa_system_sgpr_workgroup_id_z 0
		.amdhsa_system_sgpr_workgroup_info 0
		.amdhsa_system_vgpr_workitem_id 0
		.amdhsa_next_free_vgpr 8
		.amdhsa_next_free_sgpr 7
		.amdhsa_reserve_vcc 1
		.amdhsa_reserve_flat_scratch 0
		.amdhsa_float_round_mode_32 0
		.amdhsa_float_round_mode_16_64 0
		.amdhsa_float_denorm_mode_32 3
		.amdhsa_float_denorm_mode_16_64 3
		.amdhsa_dx10_clamp 1
		.amdhsa_ieee_mode 1
		.amdhsa_fp16_overflow 0
		.amdhsa_exception_fp_ieee_invalid_op 0
		.amdhsa_exception_fp_denorm_src 0
		.amdhsa_exception_fp_ieee_div_zero 0
		.amdhsa_exception_fp_ieee_overflow 0
		.amdhsa_exception_fp_ieee_underflow 0
		.amdhsa_exception_fp_ieee_inexact 0
		.amdhsa_exception_int_div_zero 0
	.end_amdhsa_kernel
	.section	.text._Z17warp_store_kernelILj256ELj32ELj32ELN6hipcub18WarpStoreAlgorithmE2EdEvPT3_,"axG",@progbits,_Z17warp_store_kernelILj256ELj32ELj32ELN6hipcub18WarpStoreAlgorithmE2EdEvPT3_,comdat
.Lfunc_end33:
	.size	_Z17warp_store_kernelILj256ELj32ELj32ELN6hipcub18WarpStoreAlgorithmE2EdEvPT3_, .Lfunc_end33-_Z17warp_store_kernelILj256ELj32ELj32ELN6hipcub18WarpStoreAlgorithmE2EdEvPT3_
                                        ; -- End function
	.set _Z17warp_store_kernelILj256ELj32ELj32ELN6hipcub18WarpStoreAlgorithmE2EdEvPT3_.num_vgpr, 8
	.set _Z17warp_store_kernelILj256ELj32ELj32ELN6hipcub18WarpStoreAlgorithmE2EdEvPT3_.num_agpr, 0
	.set _Z17warp_store_kernelILj256ELj32ELj32ELN6hipcub18WarpStoreAlgorithmE2EdEvPT3_.numbered_sgpr, 7
	.set _Z17warp_store_kernelILj256ELj32ELj32ELN6hipcub18WarpStoreAlgorithmE2EdEvPT3_.num_named_barrier, 0
	.set _Z17warp_store_kernelILj256ELj32ELj32ELN6hipcub18WarpStoreAlgorithmE2EdEvPT3_.private_seg_size, 0
	.set _Z17warp_store_kernelILj256ELj32ELj32ELN6hipcub18WarpStoreAlgorithmE2EdEvPT3_.uses_vcc, 1
	.set _Z17warp_store_kernelILj256ELj32ELj32ELN6hipcub18WarpStoreAlgorithmE2EdEvPT3_.uses_flat_scratch, 0
	.set _Z17warp_store_kernelILj256ELj32ELj32ELN6hipcub18WarpStoreAlgorithmE2EdEvPT3_.has_dyn_sized_stack, 0
	.set _Z17warp_store_kernelILj256ELj32ELj32ELN6hipcub18WarpStoreAlgorithmE2EdEvPT3_.has_recursion, 0
	.set _Z17warp_store_kernelILj256ELj32ELj32ELN6hipcub18WarpStoreAlgorithmE2EdEvPT3_.has_indirect_call, 0
	.section	.AMDGPU.csdata,"",@progbits
; Kernel info:
; codeLenInByte = 536
; TotalNumSgprs: 11
; NumVgprs: 8
; ScratchSize: 0
; MemoryBound: 1
; FloatMode: 240
; IeeeMode: 1
; LDSByteSize: 0 bytes/workgroup (compile time only)
; SGPRBlocks: 1
; VGPRBlocks: 1
; NumSGPRsForWavesPerEU: 11
; NumVGPRsForWavesPerEU: 8
; Occupancy: 10
; WaveLimiterHint : 1
; COMPUTE_PGM_RSRC2:SCRATCH_EN: 0
; COMPUTE_PGM_RSRC2:USER_SGPR: 6
; COMPUTE_PGM_RSRC2:TRAP_HANDLER: 0
; COMPUTE_PGM_RSRC2:TGID_X_EN: 1
; COMPUTE_PGM_RSRC2:TGID_Y_EN: 0
; COMPUTE_PGM_RSRC2:TGID_Z_EN: 0
; COMPUTE_PGM_RSRC2:TIDIG_COMP_CNT: 0
	.section	.text._Z17warp_store_kernelILj256ELj64ELj32ELN6hipcub18WarpStoreAlgorithmE0EdEvPT3_,"axG",@progbits,_Z17warp_store_kernelILj256ELj64ELj32ELN6hipcub18WarpStoreAlgorithmE0EdEvPT3_,comdat
	.protected	_Z17warp_store_kernelILj256ELj64ELj32ELN6hipcub18WarpStoreAlgorithmE0EdEvPT3_ ; -- Begin function _Z17warp_store_kernelILj256ELj64ELj32ELN6hipcub18WarpStoreAlgorithmE0EdEvPT3_
	.globl	_Z17warp_store_kernelILj256ELj64ELj32ELN6hipcub18WarpStoreAlgorithmE0EdEvPT3_
	.p2align	8
	.type	_Z17warp_store_kernelILj256ELj64ELj32ELN6hipcub18WarpStoreAlgorithmE0EdEvPT3_,@function
_Z17warp_store_kernelILj256ELj64ELj32ELN6hipcub18WarpStoreAlgorithmE0EdEvPT3_: ; @_Z17warp_store_kernelILj256ELj64ELj32ELN6hipcub18WarpStoreAlgorithmE0EdEvPT3_
; %bb.0:
	s_load_dwordx2 s[0:1], s[4:5], 0x0
	v_lshlrev_b32_e32 v0, 6, v0
	v_mbcnt_lo_u32_b32 v1, -1, 0
	v_and_b32_e32 v0, 0x3800, v0
	v_mbcnt_hi_u32_b32 v4, -1, v1
	v_lshl_or_b32 v0, s6, 14, v0
	v_mov_b32_e32 v1, 0
	v_lshlrev_b64 v[2:3], 3, v[0:1]
	s_waitcnt lgkmcnt(0)
	v_mov_b32_e32 v0, s1
	v_add_co_u32_e32 v2, vcc, s0, v2
	v_addc_co_u32_e32 v0, vcc, v0, v3, vcc
	v_lshlrev_b32_e32 v3, 9, v4
	v_and_b32_e32 v3, 0x3e00, v3
	v_add_co_u32_e32 v6, vcc, v2, v3
	v_addc_co_u32_e32 v7, vcc, 0, v0, vcc
	v_mov_b32_e32 v3, 0x3ff00000
	v_mov_b32_e32 v0, v1
	v_mov_b32_e32 v2, v1
	global_store_dwordx4 v[6:7], v[0:3], off
	v_mov_b32_e32 v5, 0x40080000
	v_mov_b32_e32 v3, 2.0
	v_mov_b32_e32 v4, v1
	global_store_dwordx4 v[6:7], v[2:5], off offset:16
	s_nop 0
	v_mov_b32_e32 v3, 0x40100000
	v_mov_b32_e32 v5, 0x40140000
	global_store_dwordx4 v[6:7], v[2:5], off offset:32
	s_nop 0
	v_mov_b32_e32 v3, 0x40180000
	;; [unrolled: 4-line block ×30, first 2 shown]
	v_mov_b32_e32 v5, 0x404f8000
	global_store_dwordx4 v[6:7], v[2:5], off offset:496
	s_endpgm
	.section	.rodata,"a",@progbits
	.p2align	6, 0x0
	.amdhsa_kernel _Z17warp_store_kernelILj256ELj64ELj32ELN6hipcub18WarpStoreAlgorithmE0EdEvPT3_
		.amdhsa_group_segment_fixed_size 0
		.amdhsa_private_segment_fixed_size 0
		.amdhsa_kernarg_size 8
		.amdhsa_user_sgpr_count 6
		.amdhsa_user_sgpr_private_segment_buffer 1
		.amdhsa_user_sgpr_dispatch_ptr 0
		.amdhsa_user_sgpr_queue_ptr 0
		.amdhsa_user_sgpr_kernarg_segment_ptr 1
		.amdhsa_user_sgpr_dispatch_id 0
		.amdhsa_user_sgpr_flat_scratch_init 0
		.amdhsa_user_sgpr_private_segment_size 0
		.amdhsa_uses_dynamic_stack 0
		.amdhsa_system_sgpr_private_segment_wavefront_offset 0
		.amdhsa_system_sgpr_workgroup_id_x 1
		.amdhsa_system_sgpr_workgroup_id_y 0
		.amdhsa_system_sgpr_workgroup_id_z 0
		.amdhsa_system_sgpr_workgroup_info 0
		.amdhsa_system_vgpr_workitem_id 0
		.amdhsa_next_free_vgpr 8
		.amdhsa_next_free_sgpr 7
		.amdhsa_reserve_vcc 1
		.amdhsa_reserve_flat_scratch 0
		.amdhsa_float_round_mode_32 0
		.amdhsa_float_round_mode_16_64 0
		.amdhsa_float_denorm_mode_32 3
		.amdhsa_float_denorm_mode_16_64 3
		.amdhsa_dx10_clamp 1
		.amdhsa_ieee_mode 1
		.amdhsa_fp16_overflow 0
		.amdhsa_exception_fp_ieee_invalid_op 0
		.amdhsa_exception_fp_denorm_src 0
		.amdhsa_exception_fp_ieee_div_zero 0
		.amdhsa_exception_fp_ieee_overflow 0
		.amdhsa_exception_fp_ieee_underflow 0
		.amdhsa_exception_fp_ieee_inexact 0
		.amdhsa_exception_int_div_zero 0
	.end_amdhsa_kernel
	.section	.text._Z17warp_store_kernelILj256ELj64ELj32ELN6hipcub18WarpStoreAlgorithmE0EdEvPT3_,"axG",@progbits,_Z17warp_store_kernelILj256ELj64ELj32ELN6hipcub18WarpStoreAlgorithmE0EdEvPT3_,comdat
.Lfunc_end34:
	.size	_Z17warp_store_kernelILj256ELj64ELj32ELN6hipcub18WarpStoreAlgorithmE0EdEvPT3_, .Lfunc_end34-_Z17warp_store_kernelILj256ELj64ELj32ELN6hipcub18WarpStoreAlgorithmE0EdEvPT3_
                                        ; -- End function
	.set _Z17warp_store_kernelILj256ELj64ELj32ELN6hipcub18WarpStoreAlgorithmE0EdEvPT3_.num_vgpr, 8
	.set _Z17warp_store_kernelILj256ELj64ELj32ELN6hipcub18WarpStoreAlgorithmE0EdEvPT3_.num_agpr, 0
	.set _Z17warp_store_kernelILj256ELj64ELj32ELN6hipcub18WarpStoreAlgorithmE0EdEvPT3_.numbered_sgpr, 7
	.set _Z17warp_store_kernelILj256ELj64ELj32ELN6hipcub18WarpStoreAlgorithmE0EdEvPT3_.num_named_barrier, 0
	.set _Z17warp_store_kernelILj256ELj64ELj32ELN6hipcub18WarpStoreAlgorithmE0EdEvPT3_.private_seg_size, 0
	.set _Z17warp_store_kernelILj256ELj64ELj32ELN6hipcub18WarpStoreAlgorithmE0EdEvPT3_.uses_vcc, 1
	.set _Z17warp_store_kernelILj256ELj64ELj32ELN6hipcub18WarpStoreAlgorithmE0EdEvPT3_.uses_flat_scratch, 0
	.set _Z17warp_store_kernelILj256ELj64ELj32ELN6hipcub18WarpStoreAlgorithmE0EdEvPT3_.has_dyn_sized_stack, 0
	.set _Z17warp_store_kernelILj256ELj64ELj32ELN6hipcub18WarpStoreAlgorithmE0EdEvPT3_.has_recursion, 0
	.set _Z17warp_store_kernelILj256ELj64ELj32ELN6hipcub18WarpStoreAlgorithmE0EdEvPT3_.has_indirect_call, 0
	.section	.AMDGPU.csdata,"",@progbits
; Kernel info:
; codeLenInByte = 984
; TotalNumSgprs: 11
; NumVgprs: 8
; ScratchSize: 0
; MemoryBound: 1
; FloatMode: 240
; IeeeMode: 1
; LDSByteSize: 0 bytes/workgroup (compile time only)
; SGPRBlocks: 1
; VGPRBlocks: 1
; NumSGPRsForWavesPerEU: 11
; NumVGPRsForWavesPerEU: 8
; Occupancy: 10
; WaveLimiterHint : 1
; COMPUTE_PGM_RSRC2:SCRATCH_EN: 0
; COMPUTE_PGM_RSRC2:USER_SGPR: 6
; COMPUTE_PGM_RSRC2:TRAP_HANDLER: 0
; COMPUTE_PGM_RSRC2:TGID_X_EN: 1
; COMPUTE_PGM_RSRC2:TGID_Y_EN: 0
; COMPUTE_PGM_RSRC2:TGID_Z_EN: 0
; COMPUTE_PGM_RSRC2:TIDIG_COMP_CNT: 0
	.section	.text._Z17warp_store_kernelILj256ELj64ELj32ELN6hipcub18WarpStoreAlgorithmE1EdEvPT3_,"axG",@progbits,_Z17warp_store_kernelILj256ELj64ELj32ELN6hipcub18WarpStoreAlgorithmE1EdEvPT3_,comdat
	.protected	_Z17warp_store_kernelILj256ELj64ELj32ELN6hipcub18WarpStoreAlgorithmE1EdEvPT3_ ; -- Begin function _Z17warp_store_kernelILj256ELj64ELj32ELN6hipcub18WarpStoreAlgorithmE1EdEvPT3_
	.globl	_Z17warp_store_kernelILj256ELj64ELj32ELN6hipcub18WarpStoreAlgorithmE1EdEvPT3_
	.p2align	8
	.type	_Z17warp_store_kernelILj256ELj64ELj32ELN6hipcub18WarpStoreAlgorithmE1EdEvPT3_,@function
_Z17warp_store_kernelILj256ELj64ELj32ELN6hipcub18WarpStoreAlgorithmE1EdEvPT3_: ; @_Z17warp_store_kernelILj256ELj64ELj32ELN6hipcub18WarpStoreAlgorithmE1EdEvPT3_
; %bb.0:
	s_load_dwordx2 s[0:1], s[4:5], 0x0
	v_mbcnt_lo_u32_b32 v1, -1, 0
	v_lshlrev_b32_e32 v0, 6, v0
	v_mbcnt_hi_u32_b32 v1, -1, v1
	v_and_b32_e32 v0, 0x3800, v0
	v_and_b32_e32 v4, 31, v1
	v_lshl_or_b32 v0, s6, 14, v0
	v_mov_b32_e32 v1, 0
	v_lshlrev_b64 v[2:3], 3, v[0:1]
	s_waitcnt lgkmcnt(0)
	v_mov_b32_e32 v0, s1
	v_add_co_u32_e32 v2, vcc, s0, v2
	v_addc_co_u32_e32 v0, vcc, v0, v3, vcc
	v_lshlrev_b32_e32 v3, 3, v4
	v_add_co_u32_e32 v2, vcc, v2, v3
	v_addc_co_u32_e32 v3, vcc, 0, v0, vcc
	v_mov_b32_e32 v5, 0x3ff00000
	v_mov_b32_e32 v4, v1
	global_store_dwordx2 v[2:3], v[4:5], off offset:256
	v_mov_b32_e32 v5, 2.0
	global_store_dwordx2 v[2:3], v[4:5], off offset:512
	v_mov_b32_e32 v5, 0x40080000
	global_store_dwordx2 v[2:3], v[4:5], off offset:768
	v_mov_b32_e32 v5, 0x40100000
	;; [unrolled: 2-line block ×13, first 2 shown]
	s_movk_i32 s0, 0x1000
	global_store_dwordx2 v[2:3], v[4:5], off offset:3840
	v_add_co_u32_e32 v4, vcc, s0, v2
	v_addc_co_u32_e32 v5, vcc, 0, v3, vcc
	s_movk_i32 s0, 0x2000
	v_add_co_u32_e32 v8, vcc, s0, v2
	v_mov_b32_e32 v7, 0x40300000
	v_mov_b32_e32 v6, v1
	v_addc_co_u32_e32 v9, vcc, 0, v3, vcc
	global_store_dwordx2 v[8:9], v[6:7], off offset:-4096
	v_mov_b32_e32 v7, 0x40310000
	global_store_dwordx2 v[4:5], v[6:7], off offset:256
	v_mov_b32_e32 v7, 0x40320000
	global_store_dwordx2 v[4:5], v[6:7], off offset:512
	;; [unrolled: 2-line block ×15, first 2 shown]
	v_mov_b32_e32 v5, 0x40400000
	v_mov_b32_e32 v4, v1
	global_store_dwordx2 v[8:9], v[4:5], off
	v_mov_b32_e32 v5, 0x40408000
	global_store_dwordx2 v[8:9], v[4:5], off offset:256
	v_mov_b32_e32 v5, 0x40410000
	global_store_dwordx2 v[8:9], v[4:5], off offset:512
	;; [unrolled: 2-line block ×12, first 2 shown]
	v_mov_b32_e32 v5, 0x40468000
	v_mov_b32_e32 v0, v1
	global_store_dwordx2 v[8:9], v[4:5], off offset:3328
	v_mov_b32_e32 v5, 0x40470000
	s_movk_i32 s0, 0x3000
	global_store_dwordx2 v[2:3], v[0:1], off
	global_store_dwordx2 v[8:9], v[4:5], off offset:3584
	v_mov_b32_e32 v5, 0x40478000
	v_add_co_u32_e32 v2, vcc, s0, v2
	global_store_dwordx2 v[8:9], v[4:5], off offset:3840
	v_addc_co_u32_e32 v3, vcc, 0, v3, vcc
	v_mov_b32_e32 v5, 0x40480000
	global_store_dwordx2 v[2:3], v[4:5], off
	v_mov_b32_e32 v5, 0x40488000
	global_store_dwordx2 v[2:3], v[4:5], off offset:256
	v_mov_b32_e32 v5, 0x40490000
	global_store_dwordx2 v[2:3], v[4:5], off offset:512
	;; [unrolled: 2-line block ×15, first 2 shown]
	s_endpgm
	.section	.rodata,"a",@progbits
	.p2align	6, 0x0
	.amdhsa_kernel _Z17warp_store_kernelILj256ELj64ELj32ELN6hipcub18WarpStoreAlgorithmE1EdEvPT3_
		.amdhsa_group_segment_fixed_size 0
		.amdhsa_private_segment_fixed_size 0
		.amdhsa_kernarg_size 8
		.amdhsa_user_sgpr_count 6
		.amdhsa_user_sgpr_private_segment_buffer 1
		.amdhsa_user_sgpr_dispatch_ptr 0
		.amdhsa_user_sgpr_queue_ptr 0
		.amdhsa_user_sgpr_kernarg_segment_ptr 1
		.amdhsa_user_sgpr_dispatch_id 0
		.amdhsa_user_sgpr_flat_scratch_init 0
		.amdhsa_user_sgpr_private_segment_size 0
		.amdhsa_uses_dynamic_stack 0
		.amdhsa_system_sgpr_private_segment_wavefront_offset 0
		.amdhsa_system_sgpr_workgroup_id_x 1
		.amdhsa_system_sgpr_workgroup_id_y 0
		.amdhsa_system_sgpr_workgroup_id_z 0
		.amdhsa_system_sgpr_workgroup_info 0
		.amdhsa_system_vgpr_workitem_id 0
		.amdhsa_next_free_vgpr 10
		.amdhsa_next_free_sgpr 7
		.amdhsa_reserve_vcc 1
		.amdhsa_reserve_flat_scratch 0
		.amdhsa_float_round_mode_32 0
		.amdhsa_float_round_mode_16_64 0
		.amdhsa_float_denorm_mode_32 3
		.amdhsa_float_denorm_mode_16_64 3
		.amdhsa_dx10_clamp 1
		.amdhsa_ieee_mode 1
		.amdhsa_fp16_overflow 0
		.amdhsa_exception_fp_ieee_invalid_op 0
		.amdhsa_exception_fp_denorm_src 0
		.amdhsa_exception_fp_ieee_div_zero 0
		.amdhsa_exception_fp_ieee_overflow 0
		.amdhsa_exception_fp_ieee_underflow 0
		.amdhsa_exception_fp_ieee_inexact 0
		.amdhsa_exception_int_div_zero 0
	.end_amdhsa_kernel
	.section	.text._Z17warp_store_kernelILj256ELj64ELj32ELN6hipcub18WarpStoreAlgorithmE1EdEvPT3_,"axG",@progbits,_Z17warp_store_kernelILj256ELj64ELj32ELN6hipcub18WarpStoreAlgorithmE1EdEvPT3_,comdat
.Lfunc_end35:
	.size	_Z17warp_store_kernelILj256ELj64ELj32ELN6hipcub18WarpStoreAlgorithmE1EdEvPT3_, .Lfunc_end35-_Z17warp_store_kernelILj256ELj64ELj32ELN6hipcub18WarpStoreAlgorithmE1EdEvPT3_
                                        ; -- End function
	.set _Z17warp_store_kernelILj256ELj64ELj32ELN6hipcub18WarpStoreAlgorithmE1EdEvPT3_.num_vgpr, 10
	.set _Z17warp_store_kernelILj256ELj64ELj32ELN6hipcub18WarpStoreAlgorithmE1EdEvPT3_.num_agpr, 0
	.set _Z17warp_store_kernelILj256ELj64ELj32ELN6hipcub18WarpStoreAlgorithmE1EdEvPT3_.numbered_sgpr, 7
	.set _Z17warp_store_kernelILj256ELj64ELj32ELN6hipcub18WarpStoreAlgorithmE1EdEvPT3_.num_named_barrier, 0
	.set _Z17warp_store_kernelILj256ELj64ELj32ELN6hipcub18WarpStoreAlgorithmE1EdEvPT3_.private_seg_size, 0
	.set _Z17warp_store_kernelILj256ELj64ELj32ELN6hipcub18WarpStoreAlgorithmE1EdEvPT3_.uses_vcc, 1
	.set _Z17warp_store_kernelILj256ELj64ELj32ELN6hipcub18WarpStoreAlgorithmE1EdEvPT3_.uses_flat_scratch, 0
	.set _Z17warp_store_kernelILj256ELj64ELj32ELN6hipcub18WarpStoreAlgorithmE1EdEvPT3_.has_dyn_sized_stack, 0
	.set _Z17warp_store_kernelILj256ELj64ELj32ELN6hipcub18WarpStoreAlgorithmE1EdEvPT3_.has_recursion, 0
	.set _Z17warp_store_kernelILj256ELj64ELj32ELN6hipcub18WarpStoreAlgorithmE1EdEvPT3_.has_indirect_call, 0
	.section	.AMDGPU.csdata,"",@progbits
; Kernel info:
; codeLenInByte = 1156
; TotalNumSgprs: 11
; NumVgprs: 10
; ScratchSize: 0
; MemoryBound: 1
; FloatMode: 240
; IeeeMode: 1
; LDSByteSize: 0 bytes/workgroup (compile time only)
; SGPRBlocks: 1
; VGPRBlocks: 2
; NumSGPRsForWavesPerEU: 11
; NumVGPRsForWavesPerEU: 10
; Occupancy: 10
; WaveLimiterHint : 1
; COMPUTE_PGM_RSRC2:SCRATCH_EN: 0
; COMPUTE_PGM_RSRC2:USER_SGPR: 6
; COMPUTE_PGM_RSRC2:TRAP_HANDLER: 0
; COMPUTE_PGM_RSRC2:TGID_X_EN: 1
; COMPUTE_PGM_RSRC2:TGID_Y_EN: 0
; COMPUTE_PGM_RSRC2:TGID_Z_EN: 0
; COMPUTE_PGM_RSRC2:TIDIG_COMP_CNT: 0
	.section	.text._Z17warp_store_kernelILj256ELj64ELj32ELN6hipcub18WarpStoreAlgorithmE2EdEvPT3_,"axG",@progbits,_Z17warp_store_kernelILj256ELj64ELj32ELN6hipcub18WarpStoreAlgorithmE2EdEvPT3_,comdat
	.protected	_Z17warp_store_kernelILj256ELj64ELj32ELN6hipcub18WarpStoreAlgorithmE2EdEvPT3_ ; -- Begin function _Z17warp_store_kernelILj256ELj64ELj32ELN6hipcub18WarpStoreAlgorithmE2EdEvPT3_
	.globl	_Z17warp_store_kernelILj256ELj64ELj32ELN6hipcub18WarpStoreAlgorithmE2EdEvPT3_
	.p2align	8
	.type	_Z17warp_store_kernelILj256ELj64ELj32ELN6hipcub18WarpStoreAlgorithmE2EdEvPT3_,@function
_Z17warp_store_kernelILj256ELj64ELj32ELN6hipcub18WarpStoreAlgorithmE2EdEvPT3_: ; @_Z17warp_store_kernelILj256ELj64ELj32ELN6hipcub18WarpStoreAlgorithmE2EdEvPT3_
; %bb.0:
	s_load_dwordx2 s[0:1], s[4:5], 0x0
	v_lshlrev_b32_e32 v0, 6, v0
	v_mbcnt_lo_u32_b32 v1, -1, 0
	v_and_b32_e32 v0, 0x3800, v0
	v_mbcnt_hi_u32_b32 v4, -1, v1
	v_lshl_or_b32 v0, s6, 14, v0
	v_mov_b32_e32 v1, 0
	v_lshlrev_b64 v[2:3], 3, v[0:1]
	s_waitcnt lgkmcnt(0)
	v_mov_b32_e32 v0, s1
	v_add_co_u32_e32 v2, vcc, s0, v2
	v_addc_co_u32_e32 v0, vcc, v0, v3, vcc
	v_lshlrev_b32_e32 v3, 9, v4
	v_and_b32_e32 v3, 0x3e00, v3
	v_add_co_u32_e32 v6, vcc, v2, v3
	v_addc_co_u32_e32 v7, vcc, 0, v0, vcc
	v_mov_b32_e32 v3, 0x3ff00000
	v_mov_b32_e32 v0, v1
	v_mov_b32_e32 v2, v1
	global_store_dwordx4 v[6:7], v[0:3], off
	v_mov_b32_e32 v5, 0x40080000
	v_mov_b32_e32 v3, 2.0
	v_mov_b32_e32 v4, v1
	global_store_dwordx4 v[6:7], v[2:5], off offset:16
	s_nop 0
	v_mov_b32_e32 v3, 0x40100000
	v_mov_b32_e32 v5, 0x40140000
	global_store_dwordx4 v[6:7], v[2:5], off offset:32
	s_nop 0
	v_mov_b32_e32 v3, 0x40180000
	;; [unrolled: 4-line block ×30, first 2 shown]
	v_mov_b32_e32 v5, 0x404f8000
	global_store_dwordx4 v[6:7], v[2:5], off offset:496
	s_endpgm
	.section	.rodata,"a",@progbits
	.p2align	6, 0x0
	.amdhsa_kernel _Z17warp_store_kernelILj256ELj64ELj32ELN6hipcub18WarpStoreAlgorithmE2EdEvPT3_
		.amdhsa_group_segment_fixed_size 0
		.amdhsa_private_segment_fixed_size 0
		.amdhsa_kernarg_size 8
		.amdhsa_user_sgpr_count 6
		.amdhsa_user_sgpr_private_segment_buffer 1
		.amdhsa_user_sgpr_dispatch_ptr 0
		.amdhsa_user_sgpr_queue_ptr 0
		.amdhsa_user_sgpr_kernarg_segment_ptr 1
		.amdhsa_user_sgpr_dispatch_id 0
		.amdhsa_user_sgpr_flat_scratch_init 0
		.amdhsa_user_sgpr_private_segment_size 0
		.amdhsa_uses_dynamic_stack 0
		.amdhsa_system_sgpr_private_segment_wavefront_offset 0
		.amdhsa_system_sgpr_workgroup_id_x 1
		.amdhsa_system_sgpr_workgroup_id_y 0
		.amdhsa_system_sgpr_workgroup_id_z 0
		.amdhsa_system_sgpr_workgroup_info 0
		.amdhsa_system_vgpr_workitem_id 0
		.amdhsa_next_free_vgpr 8
		.amdhsa_next_free_sgpr 7
		.amdhsa_reserve_vcc 1
		.amdhsa_reserve_flat_scratch 0
		.amdhsa_float_round_mode_32 0
		.amdhsa_float_round_mode_16_64 0
		.amdhsa_float_denorm_mode_32 3
		.amdhsa_float_denorm_mode_16_64 3
		.amdhsa_dx10_clamp 1
		.amdhsa_ieee_mode 1
		.amdhsa_fp16_overflow 0
		.amdhsa_exception_fp_ieee_invalid_op 0
		.amdhsa_exception_fp_denorm_src 0
		.amdhsa_exception_fp_ieee_div_zero 0
		.amdhsa_exception_fp_ieee_overflow 0
		.amdhsa_exception_fp_ieee_underflow 0
		.amdhsa_exception_fp_ieee_inexact 0
		.amdhsa_exception_int_div_zero 0
	.end_amdhsa_kernel
	.section	.text._Z17warp_store_kernelILj256ELj64ELj32ELN6hipcub18WarpStoreAlgorithmE2EdEvPT3_,"axG",@progbits,_Z17warp_store_kernelILj256ELj64ELj32ELN6hipcub18WarpStoreAlgorithmE2EdEvPT3_,comdat
.Lfunc_end36:
	.size	_Z17warp_store_kernelILj256ELj64ELj32ELN6hipcub18WarpStoreAlgorithmE2EdEvPT3_, .Lfunc_end36-_Z17warp_store_kernelILj256ELj64ELj32ELN6hipcub18WarpStoreAlgorithmE2EdEvPT3_
                                        ; -- End function
	.set _Z17warp_store_kernelILj256ELj64ELj32ELN6hipcub18WarpStoreAlgorithmE2EdEvPT3_.num_vgpr, 8
	.set _Z17warp_store_kernelILj256ELj64ELj32ELN6hipcub18WarpStoreAlgorithmE2EdEvPT3_.num_agpr, 0
	.set _Z17warp_store_kernelILj256ELj64ELj32ELN6hipcub18WarpStoreAlgorithmE2EdEvPT3_.numbered_sgpr, 7
	.set _Z17warp_store_kernelILj256ELj64ELj32ELN6hipcub18WarpStoreAlgorithmE2EdEvPT3_.num_named_barrier, 0
	.set _Z17warp_store_kernelILj256ELj64ELj32ELN6hipcub18WarpStoreAlgorithmE2EdEvPT3_.private_seg_size, 0
	.set _Z17warp_store_kernelILj256ELj64ELj32ELN6hipcub18WarpStoreAlgorithmE2EdEvPT3_.uses_vcc, 1
	.set _Z17warp_store_kernelILj256ELj64ELj32ELN6hipcub18WarpStoreAlgorithmE2EdEvPT3_.uses_flat_scratch, 0
	.set _Z17warp_store_kernelILj256ELj64ELj32ELN6hipcub18WarpStoreAlgorithmE2EdEvPT3_.has_dyn_sized_stack, 0
	.set _Z17warp_store_kernelILj256ELj64ELj32ELN6hipcub18WarpStoreAlgorithmE2EdEvPT3_.has_recursion, 0
	.set _Z17warp_store_kernelILj256ELj64ELj32ELN6hipcub18WarpStoreAlgorithmE2EdEvPT3_.has_indirect_call, 0
	.section	.AMDGPU.csdata,"",@progbits
; Kernel info:
; codeLenInByte = 984
; TotalNumSgprs: 11
; NumVgprs: 8
; ScratchSize: 0
; MemoryBound: 1
; FloatMode: 240
; IeeeMode: 1
; LDSByteSize: 0 bytes/workgroup (compile time only)
; SGPRBlocks: 1
; VGPRBlocks: 1
; NumSGPRsForWavesPerEU: 11
; NumVGPRsForWavesPerEU: 8
; Occupancy: 10
; WaveLimiterHint : 1
; COMPUTE_PGM_RSRC2:SCRATCH_EN: 0
; COMPUTE_PGM_RSRC2:USER_SGPR: 6
; COMPUTE_PGM_RSRC2:TRAP_HANDLER: 0
; COMPUTE_PGM_RSRC2:TGID_X_EN: 1
; COMPUTE_PGM_RSRC2:TGID_Y_EN: 0
; COMPUTE_PGM_RSRC2:TGID_Z_EN: 0
; COMPUTE_PGM_RSRC2:TIDIG_COMP_CNT: 0
	.section	.text._Z17warp_store_kernelILj256ELj4ELj64ELN6hipcub18WarpStoreAlgorithmE0EiEvPT3_,"axG",@progbits,_Z17warp_store_kernelILj256ELj4ELj64ELN6hipcub18WarpStoreAlgorithmE0EiEvPT3_,comdat
	.protected	_Z17warp_store_kernelILj256ELj4ELj64ELN6hipcub18WarpStoreAlgorithmE0EiEvPT3_ ; -- Begin function _Z17warp_store_kernelILj256ELj4ELj64ELN6hipcub18WarpStoreAlgorithmE0EiEvPT3_
	.globl	_Z17warp_store_kernelILj256ELj4ELj64ELN6hipcub18WarpStoreAlgorithmE0EiEvPT3_
	.p2align	8
	.type	_Z17warp_store_kernelILj256ELj4ELj64ELN6hipcub18WarpStoreAlgorithmE0EiEvPT3_,@function
_Z17warp_store_kernelILj256ELj4ELj64ELN6hipcub18WarpStoreAlgorithmE0EiEvPT3_: ; @_Z17warp_store_kernelILj256ELj4ELj64ELN6hipcub18WarpStoreAlgorithmE0EiEvPT3_
; %bb.0:
	s_load_dwordx2 s[0:1], s[4:5], 0x0
	v_lshlrev_b32_e32 v0, 2, v0
	v_and_b32_e32 v0, 0x300, v0
	v_mbcnt_lo_u32_b32 v1, -1, 0
	v_lshl_or_b32 v3, s6, 10, v0
	v_mov_b32_e32 v4, 0
	v_mbcnt_hi_u32_b32 v2, -1, v1
	v_lshlrev_b64 v[0:1], 2, v[3:4]
	s_waitcnt lgkmcnt(0)
	v_mov_b32_e32 v3, s1
	v_add_co_u32_e32 v0, vcc, s0, v0
	v_addc_co_u32_e32 v1, vcc, v3, v1, vcc
	v_lshlrev_b32_e32 v2, 4, v2
	v_add_co_u32_e32 v5, vcc, v0, v2
	v_addc_co_u32_e32 v6, vcc, 0, v1, vcc
	v_mov_b32_e32 v1, 1
	v_mov_b32_e32 v2, 2
	;; [unrolled: 1-line block ×4, first 2 shown]
	global_store_dwordx4 v[5:6], v[0:3], off
	s_endpgm
	.section	.rodata,"a",@progbits
	.p2align	6, 0x0
	.amdhsa_kernel _Z17warp_store_kernelILj256ELj4ELj64ELN6hipcub18WarpStoreAlgorithmE0EiEvPT3_
		.amdhsa_group_segment_fixed_size 0
		.amdhsa_private_segment_fixed_size 0
		.amdhsa_kernarg_size 8
		.amdhsa_user_sgpr_count 6
		.amdhsa_user_sgpr_private_segment_buffer 1
		.amdhsa_user_sgpr_dispatch_ptr 0
		.amdhsa_user_sgpr_queue_ptr 0
		.amdhsa_user_sgpr_kernarg_segment_ptr 1
		.amdhsa_user_sgpr_dispatch_id 0
		.amdhsa_user_sgpr_flat_scratch_init 0
		.amdhsa_user_sgpr_private_segment_size 0
		.amdhsa_uses_dynamic_stack 0
		.amdhsa_system_sgpr_private_segment_wavefront_offset 0
		.amdhsa_system_sgpr_workgroup_id_x 1
		.amdhsa_system_sgpr_workgroup_id_y 0
		.amdhsa_system_sgpr_workgroup_id_z 0
		.amdhsa_system_sgpr_workgroup_info 0
		.amdhsa_system_vgpr_workitem_id 0
		.amdhsa_next_free_vgpr 7
		.amdhsa_next_free_sgpr 7
		.amdhsa_reserve_vcc 1
		.amdhsa_reserve_flat_scratch 0
		.amdhsa_float_round_mode_32 0
		.amdhsa_float_round_mode_16_64 0
		.amdhsa_float_denorm_mode_32 3
		.amdhsa_float_denorm_mode_16_64 3
		.amdhsa_dx10_clamp 1
		.amdhsa_ieee_mode 1
		.amdhsa_fp16_overflow 0
		.amdhsa_exception_fp_ieee_invalid_op 0
		.amdhsa_exception_fp_denorm_src 0
		.amdhsa_exception_fp_ieee_div_zero 0
		.amdhsa_exception_fp_ieee_overflow 0
		.amdhsa_exception_fp_ieee_underflow 0
		.amdhsa_exception_fp_ieee_inexact 0
		.amdhsa_exception_int_div_zero 0
	.end_amdhsa_kernel
	.section	.text._Z17warp_store_kernelILj256ELj4ELj64ELN6hipcub18WarpStoreAlgorithmE0EiEvPT3_,"axG",@progbits,_Z17warp_store_kernelILj256ELj4ELj64ELN6hipcub18WarpStoreAlgorithmE0EiEvPT3_,comdat
.Lfunc_end37:
	.size	_Z17warp_store_kernelILj256ELj4ELj64ELN6hipcub18WarpStoreAlgorithmE0EiEvPT3_, .Lfunc_end37-_Z17warp_store_kernelILj256ELj4ELj64ELN6hipcub18WarpStoreAlgorithmE0EiEvPT3_
                                        ; -- End function
	.set _Z17warp_store_kernelILj256ELj4ELj64ELN6hipcub18WarpStoreAlgorithmE0EiEvPT3_.num_vgpr, 7
	.set _Z17warp_store_kernelILj256ELj4ELj64ELN6hipcub18WarpStoreAlgorithmE0EiEvPT3_.num_agpr, 0
	.set _Z17warp_store_kernelILj256ELj4ELj64ELN6hipcub18WarpStoreAlgorithmE0EiEvPT3_.numbered_sgpr, 7
	.set _Z17warp_store_kernelILj256ELj4ELj64ELN6hipcub18WarpStoreAlgorithmE0EiEvPT3_.num_named_barrier, 0
	.set _Z17warp_store_kernelILj256ELj4ELj64ELN6hipcub18WarpStoreAlgorithmE0EiEvPT3_.private_seg_size, 0
	.set _Z17warp_store_kernelILj256ELj4ELj64ELN6hipcub18WarpStoreAlgorithmE0EiEvPT3_.uses_vcc, 1
	.set _Z17warp_store_kernelILj256ELj4ELj64ELN6hipcub18WarpStoreAlgorithmE0EiEvPT3_.uses_flat_scratch, 0
	.set _Z17warp_store_kernelILj256ELj4ELj64ELN6hipcub18WarpStoreAlgorithmE0EiEvPT3_.has_dyn_sized_stack, 0
	.set _Z17warp_store_kernelILj256ELj4ELj64ELN6hipcub18WarpStoreAlgorithmE0EiEvPT3_.has_recursion, 0
	.set _Z17warp_store_kernelILj256ELj4ELj64ELN6hipcub18WarpStoreAlgorithmE0EiEvPT3_.has_indirect_call, 0
	.section	.AMDGPU.csdata,"",@progbits
; Kernel info:
; codeLenInByte = 112
; TotalNumSgprs: 11
; NumVgprs: 7
; ScratchSize: 0
; MemoryBound: 0
; FloatMode: 240
; IeeeMode: 1
; LDSByteSize: 0 bytes/workgroup (compile time only)
; SGPRBlocks: 1
; VGPRBlocks: 1
; NumSGPRsForWavesPerEU: 11
; NumVGPRsForWavesPerEU: 7
; Occupancy: 10
; WaveLimiterHint : 0
; COMPUTE_PGM_RSRC2:SCRATCH_EN: 0
; COMPUTE_PGM_RSRC2:USER_SGPR: 6
; COMPUTE_PGM_RSRC2:TRAP_HANDLER: 0
; COMPUTE_PGM_RSRC2:TGID_X_EN: 1
; COMPUTE_PGM_RSRC2:TGID_Y_EN: 0
; COMPUTE_PGM_RSRC2:TGID_Z_EN: 0
; COMPUTE_PGM_RSRC2:TIDIG_COMP_CNT: 0
	.section	.text._Z17warp_store_kernelILj256ELj4ELj64ELN6hipcub18WarpStoreAlgorithmE1EiEvPT3_,"axG",@progbits,_Z17warp_store_kernelILj256ELj4ELj64ELN6hipcub18WarpStoreAlgorithmE1EiEvPT3_,comdat
	.protected	_Z17warp_store_kernelILj256ELj4ELj64ELN6hipcub18WarpStoreAlgorithmE1EiEvPT3_ ; -- Begin function _Z17warp_store_kernelILj256ELj4ELj64ELN6hipcub18WarpStoreAlgorithmE1EiEvPT3_
	.globl	_Z17warp_store_kernelILj256ELj4ELj64ELN6hipcub18WarpStoreAlgorithmE1EiEvPT3_
	.p2align	8
	.type	_Z17warp_store_kernelILj256ELj4ELj64ELN6hipcub18WarpStoreAlgorithmE1EiEvPT3_,@function
_Z17warp_store_kernelILj256ELj4ELj64ELN6hipcub18WarpStoreAlgorithmE1EiEvPT3_: ; @_Z17warp_store_kernelILj256ELj4ELj64ELN6hipcub18WarpStoreAlgorithmE1EiEvPT3_
; %bb.0:
	s_load_dwordx2 s[0:1], s[4:5], 0x0
	v_lshlrev_b32_e32 v0, 2, v0
	v_and_b32_e32 v0, 0x300, v0
	v_mov_b32_e32 v1, 0
	v_mbcnt_lo_u32_b32 v2, -1, 0
	v_lshl_or_b32 v0, s6, 10, v0
	v_mbcnt_hi_u32_b32 v4, -1, v2
	v_lshlrev_b64 v[2:3], 2, v[0:1]
	s_waitcnt lgkmcnt(0)
	v_mov_b32_e32 v0, s1
	v_add_co_u32_e32 v2, vcc, s0, v2
	v_addc_co_u32_e32 v0, vcc, v0, v3, vcc
	v_lshlrev_b32_e32 v3, 2, v4
	v_add_co_u32_e32 v2, vcc, v2, v3
	v_lshlrev_b32_e32 v3, 4, v4
	v_addc_co_u32_e32 v0, vcc, 0, v0, vcc
	v_and_b32_e32 v3, 0x400, v3
	v_add_co_u32_e32 v2, vcc, v2, v3
	v_addc_co_u32_e32 v3, vcc, 0, v0, vcc
	v_mov_b32_e32 v0, 1
	v_mov_b32_e32 v5, 2
	global_store_dword v[2:3], v1, off
	global_store_dword v[2:3], v0, off offset:256
	global_store_dword v[2:3], v5, off offset:512
	v_mov_b32_e32 v0, 3
	global_store_dword v[2:3], v0, off offset:768
	s_endpgm
	.section	.rodata,"a",@progbits
	.p2align	6, 0x0
	.amdhsa_kernel _Z17warp_store_kernelILj256ELj4ELj64ELN6hipcub18WarpStoreAlgorithmE1EiEvPT3_
		.amdhsa_group_segment_fixed_size 0
		.amdhsa_private_segment_fixed_size 0
		.amdhsa_kernarg_size 8
		.amdhsa_user_sgpr_count 6
		.amdhsa_user_sgpr_private_segment_buffer 1
		.amdhsa_user_sgpr_dispatch_ptr 0
		.amdhsa_user_sgpr_queue_ptr 0
		.amdhsa_user_sgpr_kernarg_segment_ptr 1
		.amdhsa_user_sgpr_dispatch_id 0
		.amdhsa_user_sgpr_flat_scratch_init 0
		.amdhsa_user_sgpr_private_segment_size 0
		.amdhsa_uses_dynamic_stack 0
		.amdhsa_system_sgpr_private_segment_wavefront_offset 0
		.amdhsa_system_sgpr_workgroup_id_x 1
		.amdhsa_system_sgpr_workgroup_id_y 0
		.amdhsa_system_sgpr_workgroup_id_z 0
		.amdhsa_system_sgpr_workgroup_info 0
		.amdhsa_system_vgpr_workitem_id 0
		.amdhsa_next_free_vgpr 6
		.amdhsa_next_free_sgpr 7
		.amdhsa_reserve_vcc 1
		.amdhsa_reserve_flat_scratch 0
		.amdhsa_float_round_mode_32 0
		.amdhsa_float_round_mode_16_64 0
		.amdhsa_float_denorm_mode_32 3
		.amdhsa_float_denorm_mode_16_64 3
		.amdhsa_dx10_clamp 1
		.amdhsa_ieee_mode 1
		.amdhsa_fp16_overflow 0
		.amdhsa_exception_fp_ieee_invalid_op 0
		.amdhsa_exception_fp_denorm_src 0
		.amdhsa_exception_fp_ieee_div_zero 0
		.amdhsa_exception_fp_ieee_overflow 0
		.amdhsa_exception_fp_ieee_underflow 0
		.amdhsa_exception_fp_ieee_inexact 0
		.amdhsa_exception_int_div_zero 0
	.end_amdhsa_kernel
	.section	.text._Z17warp_store_kernelILj256ELj4ELj64ELN6hipcub18WarpStoreAlgorithmE1EiEvPT3_,"axG",@progbits,_Z17warp_store_kernelILj256ELj4ELj64ELN6hipcub18WarpStoreAlgorithmE1EiEvPT3_,comdat
.Lfunc_end38:
	.size	_Z17warp_store_kernelILj256ELj4ELj64ELN6hipcub18WarpStoreAlgorithmE1EiEvPT3_, .Lfunc_end38-_Z17warp_store_kernelILj256ELj4ELj64ELN6hipcub18WarpStoreAlgorithmE1EiEvPT3_
                                        ; -- End function
	.set _Z17warp_store_kernelILj256ELj4ELj64ELN6hipcub18WarpStoreAlgorithmE1EiEvPT3_.num_vgpr, 6
	.set _Z17warp_store_kernelILj256ELj4ELj64ELN6hipcub18WarpStoreAlgorithmE1EiEvPT3_.num_agpr, 0
	.set _Z17warp_store_kernelILj256ELj4ELj64ELN6hipcub18WarpStoreAlgorithmE1EiEvPT3_.numbered_sgpr, 7
	.set _Z17warp_store_kernelILj256ELj4ELj64ELN6hipcub18WarpStoreAlgorithmE1EiEvPT3_.num_named_barrier, 0
	.set _Z17warp_store_kernelILj256ELj4ELj64ELN6hipcub18WarpStoreAlgorithmE1EiEvPT3_.private_seg_size, 0
	.set _Z17warp_store_kernelILj256ELj4ELj64ELN6hipcub18WarpStoreAlgorithmE1EiEvPT3_.uses_vcc, 1
	.set _Z17warp_store_kernelILj256ELj4ELj64ELN6hipcub18WarpStoreAlgorithmE1EiEvPT3_.uses_flat_scratch, 0
	.set _Z17warp_store_kernelILj256ELj4ELj64ELN6hipcub18WarpStoreAlgorithmE1EiEvPT3_.has_dyn_sized_stack, 0
	.set _Z17warp_store_kernelILj256ELj4ELj64ELN6hipcub18WarpStoreAlgorithmE1EiEvPT3_.has_recursion, 0
	.set _Z17warp_store_kernelILj256ELj4ELj64ELN6hipcub18WarpStoreAlgorithmE1EiEvPT3_.has_indirect_call, 0
	.section	.AMDGPU.csdata,"",@progbits
; Kernel info:
; codeLenInByte = 152
; TotalNumSgprs: 11
; NumVgprs: 6
; ScratchSize: 0
; MemoryBound: 0
; FloatMode: 240
; IeeeMode: 1
; LDSByteSize: 0 bytes/workgroup (compile time only)
; SGPRBlocks: 1
; VGPRBlocks: 1
; NumSGPRsForWavesPerEU: 11
; NumVGPRsForWavesPerEU: 6
; Occupancy: 10
; WaveLimiterHint : 1
; COMPUTE_PGM_RSRC2:SCRATCH_EN: 0
; COMPUTE_PGM_RSRC2:USER_SGPR: 6
; COMPUTE_PGM_RSRC2:TRAP_HANDLER: 0
; COMPUTE_PGM_RSRC2:TGID_X_EN: 1
; COMPUTE_PGM_RSRC2:TGID_Y_EN: 0
; COMPUTE_PGM_RSRC2:TGID_Z_EN: 0
; COMPUTE_PGM_RSRC2:TIDIG_COMP_CNT: 0
	.section	.text._Z17warp_store_kernelILj256ELj4ELj64ELN6hipcub18WarpStoreAlgorithmE2EiEvPT3_,"axG",@progbits,_Z17warp_store_kernelILj256ELj4ELj64ELN6hipcub18WarpStoreAlgorithmE2EiEvPT3_,comdat
	.protected	_Z17warp_store_kernelILj256ELj4ELj64ELN6hipcub18WarpStoreAlgorithmE2EiEvPT3_ ; -- Begin function _Z17warp_store_kernelILj256ELj4ELj64ELN6hipcub18WarpStoreAlgorithmE2EiEvPT3_
	.globl	_Z17warp_store_kernelILj256ELj4ELj64ELN6hipcub18WarpStoreAlgorithmE2EiEvPT3_
	.p2align	8
	.type	_Z17warp_store_kernelILj256ELj4ELj64ELN6hipcub18WarpStoreAlgorithmE2EiEvPT3_,@function
_Z17warp_store_kernelILj256ELj4ELj64ELN6hipcub18WarpStoreAlgorithmE2EiEvPT3_: ; @_Z17warp_store_kernelILj256ELj4ELj64ELN6hipcub18WarpStoreAlgorithmE2EiEvPT3_
; %bb.0:
	s_load_dwordx2 s[0:1], s[4:5], 0x0
	v_lshlrev_b32_e32 v0, 2, v0
	v_and_b32_e32 v0, 0x300, v0
	v_mbcnt_lo_u32_b32 v1, -1, 0
	v_lshl_or_b32 v3, s6, 10, v0
	v_mov_b32_e32 v4, 0
	v_mbcnt_hi_u32_b32 v2, -1, v1
	v_lshlrev_b64 v[0:1], 2, v[3:4]
	s_waitcnt lgkmcnt(0)
	v_mov_b32_e32 v3, s1
	v_add_co_u32_e32 v0, vcc, s0, v0
	v_addc_co_u32_e32 v1, vcc, v3, v1, vcc
	v_lshlrev_b32_e32 v2, 4, v2
	v_add_co_u32_e32 v5, vcc, v0, v2
	v_addc_co_u32_e32 v6, vcc, 0, v1, vcc
	v_mov_b32_e32 v1, 1
	v_mov_b32_e32 v2, 2
	;; [unrolled: 1-line block ×4, first 2 shown]
	global_store_dwordx4 v[5:6], v[0:3], off
	s_endpgm
	.section	.rodata,"a",@progbits
	.p2align	6, 0x0
	.amdhsa_kernel _Z17warp_store_kernelILj256ELj4ELj64ELN6hipcub18WarpStoreAlgorithmE2EiEvPT3_
		.amdhsa_group_segment_fixed_size 0
		.amdhsa_private_segment_fixed_size 0
		.amdhsa_kernarg_size 8
		.amdhsa_user_sgpr_count 6
		.amdhsa_user_sgpr_private_segment_buffer 1
		.amdhsa_user_sgpr_dispatch_ptr 0
		.amdhsa_user_sgpr_queue_ptr 0
		.amdhsa_user_sgpr_kernarg_segment_ptr 1
		.amdhsa_user_sgpr_dispatch_id 0
		.amdhsa_user_sgpr_flat_scratch_init 0
		.amdhsa_user_sgpr_private_segment_size 0
		.amdhsa_uses_dynamic_stack 0
		.amdhsa_system_sgpr_private_segment_wavefront_offset 0
		.amdhsa_system_sgpr_workgroup_id_x 1
		.amdhsa_system_sgpr_workgroup_id_y 0
		.amdhsa_system_sgpr_workgroup_id_z 0
		.amdhsa_system_sgpr_workgroup_info 0
		.amdhsa_system_vgpr_workitem_id 0
		.amdhsa_next_free_vgpr 7
		.amdhsa_next_free_sgpr 7
		.amdhsa_reserve_vcc 1
		.amdhsa_reserve_flat_scratch 0
		.amdhsa_float_round_mode_32 0
		.amdhsa_float_round_mode_16_64 0
		.amdhsa_float_denorm_mode_32 3
		.amdhsa_float_denorm_mode_16_64 3
		.amdhsa_dx10_clamp 1
		.amdhsa_ieee_mode 1
		.amdhsa_fp16_overflow 0
		.amdhsa_exception_fp_ieee_invalid_op 0
		.amdhsa_exception_fp_denorm_src 0
		.amdhsa_exception_fp_ieee_div_zero 0
		.amdhsa_exception_fp_ieee_overflow 0
		.amdhsa_exception_fp_ieee_underflow 0
		.amdhsa_exception_fp_ieee_inexact 0
		.amdhsa_exception_int_div_zero 0
	.end_amdhsa_kernel
	.section	.text._Z17warp_store_kernelILj256ELj4ELj64ELN6hipcub18WarpStoreAlgorithmE2EiEvPT3_,"axG",@progbits,_Z17warp_store_kernelILj256ELj4ELj64ELN6hipcub18WarpStoreAlgorithmE2EiEvPT3_,comdat
.Lfunc_end39:
	.size	_Z17warp_store_kernelILj256ELj4ELj64ELN6hipcub18WarpStoreAlgorithmE2EiEvPT3_, .Lfunc_end39-_Z17warp_store_kernelILj256ELj4ELj64ELN6hipcub18WarpStoreAlgorithmE2EiEvPT3_
                                        ; -- End function
	.set _Z17warp_store_kernelILj256ELj4ELj64ELN6hipcub18WarpStoreAlgorithmE2EiEvPT3_.num_vgpr, 7
	.set _Z17warp_store_kernelILj256ELj4ELj64ELN6hipcub18WarpStoreAlgorithmE2EiEvPT3_.num_agpr, 0
	.set _Z17warp_store_kernelILj256ELj4ELj64ELN6hipcub18WarpStoreAlgorithmE2EiEvPT3_.numbered_sgpr, 7
	.set _Z17warp_store_kernelILj256ELj4ELj64ELN6hipcub18WarpStoreAlgorithmE2EiEvPT3_.num_named_barrier, 0
	.set _Z17warp_store_kernelILj256ELj4ELj64ELN6hipcub18WarpStoreAlgorithmE2EiEvPT3_.private_seg_size, 0
	.set _Z17warp_store_kernelILj256ELj4ELj64ELN6hipcub18WarpStoreAlgorithmE2EiEvPT3_.uses_vcc, 1
	.set _Z17warp_store_kernelILj256ELj4ELj64ELN6hipcub18WarpStoreAlgorithmE2EiEvPT3_.uses_flat_scratch, 0
	.set _Z17warp_store_kernelILj256ELj4ELj64ELN6hipcub18WarpStoreAlgorithmE2EiEvPT3_.has_dyn_sized_stack, 0
	.set _Z17warp_store_kernelILj256ELj4ELj64ELN6hipcub18WarpStoreAlgorithmE2EiEvPT3_.has_recursion, 0
	.set _Z17warp_store_kernelILj256ELj4ELj64ELN6hipcub18WarpStoreAlgorithmE2EiEvPT3_.has_indirect_call, 0
	.section	.AMDGPU.csdata,"",@progbits
; Kernel info:
; codeLenInByte = 112
; TotalNumSgprs: 11
; NumVgprs: 7
; ScratchSize: 0
; MemoryBound: 0
; FloatMode: 240
; IeeeMode: 1
; LDSByteSize: 0 bytes/workgroup (compile time only)
; SGPRBlocks: 1
; VGPRBlocks: 1
; NumSGPRsForWavesPerEU: 11
; NumVGPRsForWavesPerEU: 7
; Occupancy: 10
; WaveLimiterHint : 0
; COMPUTE_PGM_RSRC2:SCRATCH_EN: 0
; COMPUTE_PGM_RSRC2:USER_SGPR: 6
; COMPUTE_PGM_RSRC2:TRAP_HANDLER: 0
; COMPUTE_PGM_RSRC2:TGID_X_EN: 1
; COMPUTE_PGM_RSRC2:TGID_Y_EN: 0
; COMPUTE_PGM_RSRC2:TGID_Z_EN: 0
; COMPUTE_PGM_RSRC2:TIDIG_COMP_CNT: 0
	.section	.text._Z17warp_store_kernelILj256ELj4ELj64ELN6hipcub18WarpStoreAlgorithmE3EiEvPT3_,"axG",@progbits,_Z17warp_store_kernelILj256ELj4ELj64ELN6hipcub18WarpStoreAlgorithmE3EiEvPT3_,comdat
	.protected	_Z17warp_store_kernelILj256ELj4ELj64ELN6hipcub18WarpStoreAlgorithmE3EiEvPT3_ ; -- Begin function _Z17warp_store_kernelILj256ELj4ELj64ELN6hipcub18WarpStoreAlgorithmE3EiEvPT3_
	.globl	_Z17warp_store_kernelILj256ELj4ELj64ELN6hipcub18WarpStoreAlgorithmE3EiEvPT3_
	.p2align	8
	.type	_Z17warp_store_kernelILj256ELj4ELj64ELN6hipcub18WarpStoreAlgorithmE3EiEvPT3_,@function
_Z17warp_store_kernelILj256ELj4ELj64ELN6hipcub18WarpStoreAlgorithmE3EiEvPT3_: ; @_Z17warp_store_kernelILj256ELj4ELj64ELN6hipcub18WarpStoreAlgorithmE3EiEvPT3_
; %bb.0:
	s_load_dwordx2 s[0:1], s[4:5], 0x0
	v_lshrrev_b32_e32 v0, 6, v0
	s_lshl_b32 s2, s6, 10
	v_mbcnt_lo_u32_b32 v1, -1, 0
	v_lshl_or_b32 v3, v0, 8, s2
	v_mov_b32_e32 v4, 0
	v_lshlrev_b32_e32 v5, 10, v0
	v_mbcnt_hi_u32_b32 v2, -1, v1
	v_lshlrev_b64 v[0:1], 2, v[3:4]
	s_waitcnt lgkmcnt(0)
	v_mov_b32_e32 v3, s1
	v_add_co_u32_e32 v6, vcc, s0, v0
	v_lshlrev_b32_e32 v9, 4, v2
	v_addc_co_u32_e32 v7, vcc, v3, v1, vcc
	v_lshlrev_b32_e32 v8, 2, v2
	v_add_u32_e32 v10, v5, v9
	v_mov_b32_e32 v1, 1
	v_mov_b32_e32 v2, 2
	;; [unrolled: 1-line block ×4, first 2 shown]
	ds_write_b128 v10, v[0:3]
	v_or_b32_e32 v2, v5, v8
	; wave barrier
	ds_read2st64_b32 v[0:1], v2 offset1:1
	ds_read2st64_b32 v[2:3], v2 offset0:2 offset1:3
	v_add_co_u32_e32 v4, vcc, v6, v8
	v_addc_co_u32_e32 v5, vcc, 0, v7, vcc
	v_and_b32_e32 v6, 0x400, v9
	v_add_co_u32_e32 v4, vcc, v4, v6
	v_addc_co_u32_e32 v5, vcc, 0, v5, vcc
	s_waitcnt lgkmcnt(1)
	global_store_dword v[4:5], v0, off
	global_store_dword v[4:5], v1, off offset:256
	s_waitcnt lgkmcnt(0)
	global_store_dword v[4:5], v2, off offset:512
	global_store_dword v[4:5], v3, off offset:768
	s_endpgm
	.section	.rodata,"a",@progbits
	.p2align	6, 0x0
	.amdhsa_kernel _Z17warp_store_kernelILj256ELj4ELj64ELN6hipcub18WarpStoreAlgorithmE3EiEvPT3_
		.amdhsa_group_segment_fixed_size 4096
		.amdhsa_private_segment_fixed_size 0
		.amdhsa_kernarg_size 8
		.amdhsa_user_sgpr_count 6
		.amdhsa_user_sgpr_private_segment_buffer 1
		.amdhsa_user_sgpr_dispatch_ptr 0
		.amdhsa_user_sgpr_queue_ptr 0
		.amdhsa_user_sgpr_kernarg_segment_ptr 1
		.amdhsa_user_sgpr_dispatch_id 0
		.amdhsa_user_sgpr_flat_scratch_init 0
		.amdhsa_user_sgpr_private_segment_size 0
		.amdhsa_uses_dynamic_stack 0
		.amdhsa_system_sgpr_private_segment_wavefront_offset 0
		.amdhsa_system_sgpr_workgroup_id_x 1
		.amdhsa_system_sgpr_workgroup_id_y 0
		.amdhsa_system_sgpr_workgroup_id_z 0
		.amdhsa_system_sgpr_workgroup_info 0
		.amdhsa_system_vgpr_workitem_id 0
		.amdhsa_next_free_vgpr 11
		.amdhsa_next_free_sgpr 7
		.amdhsa_reserve_vcc 1
		.amdhsa_reserve_flat_scratch 0
		.amdhsa_float_round_mode_32 0
		.amdhsa_float_round_mode_16_64 0
		.amdhsa_float_denorm_mode_32 3
		.amdhsa_float_denorm_mode_16_64 3
		.amdhsa_dx10_clamp 1
		.amdhsa_ieee_mode 1
		.amdhsa_fp16_overflow 0
		.amdhsa_exception_fp_ieee_invalid_op 0
		.amdhsa_exception_fp_denorm_src 0
		.amdhsa_exception_fp_ieee_div_zero 0
		.amdhsa_exception_fp_ieee_overflow 0
		.amdhsa_exception_fp_ieee_underflow 0
		.amdhsa_exception_fp_ieee_inexact 0
		.amdhsa_exception_int_div_zero 0
	.end_amdhsa_kernel
	.section	.text._Z17warp_store_kernelILj256ELj4ELj64ELN6hipcub18WarpStoreAlgorithmE3EiEvPT3_,"axG",@progbits,_Z17warp_store_kernelILj256ELj4ELj64ELN6hipcub18WarpStoreAlgorithmE3EiEvPT3_,comdat
.Lfunc_end40:
	.size	_Z17warp_store_kernelILj256ELj4ELj64ELN6hipcub18WarpStoreAlgorithmE3EiEvPT3_, .Lfunc_end40-_Z17warp_store_kernelILj256ELj4ELj64ELN6hipcub18WarpStoreAlgorithmE3EiEvPT3_
                                        ; -- End function
	.set _Z17warp_store_kernelILj256ELj4ELj64ELN6hipcub18WarpStoreAlgorithmE3EiEvPT3_.num_vgpr, 11
	.set _Z17warp_store_kernelILj256ELj4ELj64ELN6hipcub18WarpStoreAlgorithmE3EiEvPT3_.num_agpr, 0
	.set _Z17warp_store_kernelILj256ELj4ELj64ELN6hipcub18WarpStoreAlgorithmE3EiEvPT3_.numbered_sgpr, 7
	.set _Z17warp_store_kernelILj256ELj4ELj64ELN6hipcub18WarpStoreAlgorithmE3EiEvPT3_.num_named_barrier, 0
	.set _Z17warp_store_kernelILj256ELj4ELj64ELN6hipcub18WarpStoreAlgorithmE3EiEvPT3_.private_seg_size, 0
	.set _Z17warp_store_kernelILj256ELj4ELj64ELN6hipcub18WarpStoreAlgorithmE3EiEvPT3_.uses_vcc, 1
	.set _Z17warp_store_kernelILj256ELj4ELj64ELN6hipcub18WarpStoreAlgorithmE3EiEvPT3_.uses_flat_scratch, 0
	.set _Z17warp_store_kernelILj256ELj4ELj64ELN6hipcub18WarpStoreAlgorithmE3EiEvPT3_.has_dyn_sized_stack, 0
	.set _Z17warp_store_kernelILj256ELj4ELj64ELN6hipcub18WarpStoreAlgorithmE3EiEvPT3_.has_recursion, 0
	.set _Z17warp_store_kernelILj256ELj4ELj64ELN6hipcub18WarpStoreAlgorithmE3EiEvPT3_.has_indirect_call, 0
	.section	.AMDGPU.csdata,"",@progbits
; Kernel info:
; codeLenInByte = 196
; TotalNumSgprs: 11
; NumVgprs: 11
; ScratchSize: 0
; MemoryBound: 0
; FloatMode: 240
; IeeeMode: 1
; LDSByteSize: 4096 bytes/workgroup (compile time only)
; SGPRBlocks: 1
; VGPRBlocks: 2
; NumSGPRsForWavesPerEU: 11
; NumVGPRsForWavesPerEU: 11
; Occupancy: 10
; WaveLimiterHint : 1
; COMPUTE_PGM_RSRC2:SCRATCH_EN: 0
; COMPUTE_PGM_RSRC2:USER_SGPR: 6
; COMPUTE_PGM_RSRC2:TRAP_HANDLER: 0
; COMPUTE_PGM_RSRC2:TGID_X_EN: 1
; COMPUTE_PGM_RSRC2:TGID_Y_EN: 0
; COMPUTE_PGM_RSRC2:TGID_Z_EN: 0
; COMPUTE_PGM_RSRC2:TIDIG_COMP_CNT: 0
	.section	.text._Z17warp_store_kernelILj256ELj8ELj64ELN6hipcub18WarpStoreAlgorithmE0EiEvPT3_,"axG",@progbits,_Z17warp_store_kernelILj256ELj8ELj64ELN6hipcub18WarpStoreAlgorithmE0EiEvPT3_,comdat
	.protected	_Z17warp_store_kernelILj256ELj8ELj64ELN6hipcub18WarpStoreAlgorithmE0EiEvPT3_ ; -- Begin function _Z17warp_store_kernelILj256ELj8ELj64ELN6hipcub18WarpStoreAlgorithmE0EiEvPT3_
	.globl	_Z17warp_store_kernelILj256ELj8ELj64ELN6hipcub18WarpStoreAlgorithmE0EiEvPT3_
	.p2align	8
	.type	_Z17warp_store_kernelILj256ELj8ELj64ELN6hipcub18WarpStoreAlgorithmE0EiEvPT3_,@function
_Z17warp_store_kernelILj256ELj8ELj64ELN6hipcub18WarpStoreAlgorithmE0EiEvPT3_: ; @_Z17warp_store_kernelILj256ELj8ELj64ELN6hipcub18WarpStoreAlgorithmE0EiEvPT3_
; %bb.0:
	s_load_dwordx2 s[0:1], s[4:5], 0x0
	v_lshlrev_b32_e32 v0, 3, v0
	v_and_b32_e32 v0, 0x600, v0
	v_mbcnt_lo_u32_b32 v1, -1, 0
	v_lshl_or_b32 v3, s6, 11, v0
	v_mov_b32_e32 v4, 0
	v_mbcnt_hi_u32_b32 v2, -1, v1
	v_lshlrev_b64 v[0:1], 2, v[3:4]
	s_waitcnt lgkmcnt(0)
	v_mov_b32_e32 v3, s1
	v_add_co_u32_e32 v0, vcc, s0, v0
	v_addc_co_u32_e32 v1, vcc, v3, v1, vcc
	v_lshlrev_b32_e32 v2, 5, v2
	v_add_co_u32_e32 v5, vcc, v0, v2
	v_addc_co_u32_e32 v6, vcc, 0, v1, vcc
	v_mov_b32_e32 v1, 1
	v_mov_b32_e32 v2, 2
	;; [unrolled: 1-line block ×4, first 2 shown]
	global_store_dwordx4 v[5:6], v[0:3], off
	s_nop 0
	v_mov_b32_e32 v0, 4
	v_mov_b32_e32 v1, 5
	;; [unrolled: 1-line block ×4, first 2 shown]
	global_store_dwordx4 v[5:6], v[0:3], off offset:16
	s_endpgm
	.section	.rodata,"a",@progbits
	.p2align	6, 0x0
	.amdhsa_kernel _Z17warp_store_kernelILj256ELj8ELj64ELN6hipcub18WarpStoreAlgorithmE0EiEvPT3_
		.amdhsa_group_segment_fixed_size 0
		.amdhsa_private_segment_fixed_size 0
		.amdhsa_kernarg_size 8
		.amdhsa_user_sgpr_count 6
		.amdhsa_user_sgpr_private_segment_buffer 1
		.amdhsa_user_sgpr_dispatch_ptr 0
		.amdhsa_user_sgpr_queue_ptr 0
		.amdhsa_user_sgpr_kernarg_segment_ptr 1
		.amdhsa_user_sgpr_dispatch_id 0
		.amdhsa_user_sgpr_flat_scratch_init 0
		.amdhsa_user_sgpr_private_segment_size 0
		.amdhsa_uses_dynamic_stack 0
		.amdhsa_system_sgpr_private_segment_wavefront_offset 0
		.amdhsa_system_sgpr_workgroup_id_x 1
		.amdhsa_system_sgpr_workgroup_id_y 0
		.amdhsa_system_sgpr_workgroup_id_z 0
		.amdhsa_system_sgpr_workgroup_info 0
		.amdhsa_system_vgpr_workitem_id 0
		.amdhsa_next_free_vgpr 7
		.amdhsa_next_free_sgpr 7
		.amdhsa_reserve_vcc 1
		.amdhsa_reserve_flat_scratch 0
		.amdhsa_float_round_mode_32 0
		.amdhsa_float_round_mode_16_64 0
		.amdhsa_float_denorm_mode_32 3
		.amdhsa_float_denorm_mode_16_64 3
		.amdhsa_dx10_clamp 1
		.amdhsa_ieee_mode 1
		.amdhsa_fp16_overflow 0
		.amdhsa_exception_fp_ieee_invalid_op 0
		.amdhsa_exception_fp_denorm_src 0
		.amdhsa_exception_fp_ieee_div_zero 0
		.amdhsa_exception_fp_ieee_overflow 0
		.amdhsa_exception_fp_ieee_underflow 0
		.amdhsa_exception_fp_ieee_inexact 0
		.amdhsa_exception_int_div_zero 0
	.end_amdhsa_kernel
	.section	.text._Z17warp_store_kernelILj256ELj8ELj64ELN6hipcub18WarpStoreAlgorithmE0EiEvPT3_,"axG",@progbits,_Z17warp_store_kernelILj256ELj8ELj64ELN6hipcub18WarpStoreAlgorithmE0EiEvPT3_,comdat
.Lfunc_end41:
	.size	_Z17warp_store_kernelILj256ELj8ELj64ELN6hipcub18WarpStoreAlgorithmE0EiEvPT3_, .Lfunc_end41-_Z17warp_store_kernelILj256ELj8ELj64ELN6hipcub18WarpStoreAlgorithmE0EiEvPT3_
                                        ; -- End function
	.set _Z17warp_store_kernelILj256ELj8ELj64ELN6hipcub18WarpStoreAlgorithmE0EiEvPT3_.num_vgpr, 7
	.set _Z17warp_store_kernelILj256ELj8ELj64ELN6hipcub18WarpStoreAlgorithmE0EiEvPT3_.num_agpr, 0
	.set _Z17warp_store_kernelILj256ELj8ELj64ELN6hipcub18WarpStoreAlgorithmE0EiEvPT3_.numbered_sgpr, 7
	.set _Z17warp_store_kernelILj256ELj8ELj64ELN6hipcub18WarpStoreAlgorithmE0EiEvPT3_.num_named_barrier, 0
	.set _Z17warp_store_kernelILj256ELj8ELj64ELN6hipcub18WarpStoreAlgorithmE0EiEvPT3_.private_seg_size, 0
	.set _Z17warp_store_kernelILj256ELj8ELj64ELN6hipcub18WarpStoreAlgorithmE0EiEvPT3_.uses_vcc, 1
	.set _Z17warp_store_kernelILj256ELj8ELj64ELN6hipcub18WarpStoreAlgorithmE0EiEvPT3_.uses_flat_scratch, 0
	.set _Z17warp_store_kernelILj256ELj8ELj64ELN6hipcub18WarpStoreAlgorithmE0EiEvPT3_.has_dyn_sized_stack, 0
	.set _Z17warp_store_kernelILj256ELj8ELj64ELN6hipcub18WarpStoreAlgorithmE0EiEvPT3_.has_recursion, 0
	.set _Z17warp_store_kernelILj256ELj8ELj64ELN6hipcub18WarpStoreAlgorithmE0EiEvPT3_.has_indirect_call, 0
	.section	.AMDGPU.csdata,"",@progbits
; Kernel info:
; codeLenInByte = 140
; TotalNumSgprs: 11
; NumVgprs: 7
; ScratchSize: 0
; MemoryBound: 0
; FloatMode: 240
; IeeeMode: 1
; LDSByteSize: 0 bytes/workgroup (compile time only)
; SGPRBlocks: 1
; VGPRBlocks: 1
; NumSGPRsForWavesPerEU: 11
; NumVGPRsForWavesPerEU: 7
; Occupancy: 10
; WaveLimiterHint : 0
; COMPUTE_PGM_RSRC2:SCRATCH_EN: 0
; COMPUTE_PGM_RSRC2:USER_SGPR: 6
; COMPUTE_PGM_RSRC2:TRAP_HANDLER: 0
; COMPUTE_PGM_RSRC2:TGID_X_EN: 1
; COMPUTE_PGM_RSRC2:TGID_Y_EN: 0
; COMPUTE_PGM_RSRC2:TGID_Z_EN: 0
; COMPUTE_PGM_RSRC2:TIDIG_COMP_CNT: 0
	.section	.text._Z17warp_store_kernelILj256ELj8ELj64ELN6hipcub18WarpStoreAlgorithmE1EiEvPT3_,"axG",@progbits,_Z17warp_store_kernelILj256ELj8ELj64ELN6hipcub18WarpStoreAlgorithmE1EiEvPT3_,comdat
	.protected	_Z17warp_store_kernelILj256ELj8ELj64ELN6hipcub18WarpStoreAlgorithmE1EiEvPT3_ ; -- Begin function _Z17warp_store_kernelILj256ELj8ELj64ELN6hipcub18WarpStoreAlgorithmE1EiEvPT3_
	.globl	_Z17warp_store_kernelILj256ELj8ELj64ELN6hipcub18WarpStoreAlgorithmE1EiEvPT3_
	.p2align	8
	.type	_Z17warp_store_kernelILj256ELj8ELj64ELN6hipcub18WarpStoreAlgorithmE1EiEvPT3_,@function
_Z17warp_store_kernelILj256ELj8ELj64ELN6hipcub18WarpStoreAlgorithmE1EiEvPT3_: ; @_Z17warp_store_kernelILj256ELj8ELj64ELN6hipcub18WarpStoreAlgorithmE1EiEvPT3_
; %bb.0:
	s_load_dwordx2 s[0:1], s[4:5], 0x0
	v_lshlrev_b32_e32 v0, 3, v0
	v_and_b32_e32 v0, 0x600, v0
	v_mov_b32_e32 v1, 0
	v_mbcnt_lo_u32_b32 v2, -1, 0
	v_lshl_or_b32 v0, s6, 11, v0
	v_mbcnt_hi_u32_b32 v4, -1, v2
	v_lshlrev_b64 v[2:3], 2, v[0:1]
	s_waitcnt lgkmcnt(0)
	v_mov_b32_e32 v0, s1
	v_add_co_u32_e32 v2, vcc, s0, v2
	v_addc_co_u32_e32 v0, vcc, v0, v3, vcc
	v_lshlrev_b32_e32 v3, 2, v4
	v_add_co_u32_e32 v2, vcc, v2, v3
	v_lshlrev_b32_e32 v3, 5, v4
	v_addc_co_u32_e32 v0, vcc, 0, v0, vcc
	v_and_b32_e32 v3, 0x800, v3
	v_add_co_u32_e32 v2, vcc, v2, v3
	v_addc_co_u32_e32 v3, vcc, 0, v0, vcc
	v_mov_b32_e32 v0, 1
	v_mov_b32_e32 v5, 3
	;; [unrolled: 1-line block ×3, first 2 shown]
	global_store_dword v[2:3], v1, off
	global_store_dword v[2:3], v0, off offset:256
	global_store_dword v[2:3], v6, off offset:512
	;; [unrolled: 1-line block ×3, first 2 shown]
	v_mov_b32_e32 v0, 4
	v_mov_b32_e32 v7, 5
	global_store_dword v[2:3], v0, off offset:1024
	global_store_dword v[2:3], v7, off offset:1280
	v_mov_b32_e32 v0, 6
	global_store_dword v[2:3], v0, off offset:1536
	v_mov_b32_e32 v0, 7
	global_store_dword v[2:3], v0, off offset:1792
	s_endpgm
	.section	.rodata,"a",@progbits
	.p2align	6, 0x0
	.amdhsa_kernel _Z17warp_store_kernelILj256ELj8ELj64ELN6hipcub18WarpStoreAlgorithmE1EiEvPT3_
		.amdhsa_group_segment_fixed_size 0
		.amdhsa_private_segment_fixed_size 0
		.amdhsa_kernarg_size 8
		.amdhsa_user_sgpr_count 6
		.amdhsa_user_sgpr_private_segment_buffer 1
		.amdhsa_user_sgpr_dispatch_ptr 0
		.amdhsa_user_sgpr_queue_ptr 0
		.amdhsa_user_sgpr_kernarg_segment_ptr 1
		.amdhsa_user_sgpr_dispatch_id 0
		.amdhsa_user_sgpr_flat_scratch_init 0
		.amdhsa_user_sgpr_private_segment_size 0
		.amdhsa_uses_dynamic_stack 0
		.amdhsa_system_sgpr_private_segment_wavefront_offset 0
		.amdhsa_system_sgpr_workgroup_id_x 1
		.amdhsa_system_sgpr_workgroup_id_y 0
		.amdhsa_system_sgpr_workgroup_id_z 0
		.amdhsa_system_sgpr_workgroup_info 0
		.amdhsa_system_vgpr_workitem_id 0
		.amdhsa_next_free_vgpr 8
		.amdhsa_next_free_sgpr 7
		.amdhsa_reserve_vcc 1
		.amdhsa_reserve_flat_scratch 0
		.amdhsa_float_round_mode_32 0
		.amdhsa_float_round_mode_16_64 0
		.amdhsa_float_denorm_mode_32 3
		.amdhsa_float_denorm_mode_16_64 3
		.amdhsa_dx10_clamp 1
		.amdhsa_ieee_mode 1
		.amdhsa_fp16_overflow 0
		.amdhsa_exception_fp_ieee_invalid_op 0
		.amdhsa_exception_fp_denorm_src 0
		.amdhsa_exception_fp_ieee_div_zero 0
		.amdhsa_exception_fp_ieee_overflow 0
		.amdhsa_exception_fp_ieee_underflow 0
		.amdhsa_exception_fp_ieee_inexact 0
		.amdhsa_exception_int_div_zero 0
	.end_amdhsa_kernel
	.section	.text._Z17warp_store_kernelILj256ELj8ELj64ELN6hipcub18WarpStoreAlgorithmE1EiEvPT3_,"axG",@progbits,_Z17warp_store_kernelILj256ELj8ELj64ELN6hipcub18WarpStoreAlgorithmE1EiEvPT3_,comdat
.Lfunc_end42:
	.size	_Z17warp_store_kernelILj256ELj8ELj64ELN6hipcub18WarpStoreAlgorithmE1EiEvPT3_, .Lfunc_end42-_Z17warp_store_kernelILj256ELj8ELj64ELN6hipcub18WarpStoreAlgorithmE1EiEvPT3_
                                        ; -- End function
	.set _Z17warp_store_kernelILj256ELj8ELj64ELN6hipcub18WarpStoreAlgorithmE1EiEvPT3_.num_vgpr, 8
	.set _Z17warp_store_kernelILj256ELj8ELj64ELN6hipcub18WarpStoreAlgorithmE1EiEvPT3_.num_agpr, 0
	.set _Z17warp_store_kernelILj256ELj8ELj64ELN6hipcub18WarpStoreAlgorithmE1EiEvPT3_.numbered_sgpr, 7
	.set _Z17warp_store_kernelILj256ELj8ELj64ELN6hipcub18WarpStoreAlgorithmE1EiEvPT3_.num_named_barrier, 0
	.set _Z17warp_store_kernelILj256ELj8ELj64ELN6hipcub18WarpStoreAlgorithmE1EiEvPT3_.private_seg_size, 0
	.set _Z17warp_store_kernelILj256ELj8ELj64ELN6hipcub18WarpStoreAlgorithmE1EiEvPT3_.uses_vcc, 1
	.set _Z17warp_store_kernelILj256ELj8ELj64ELN6hipcub18WarpStoreAlgorithmE1EiEvPT3_.uses_flat_scratch, 0
	.set _Z17warp_store_kernelILj256ELj8ELj64ELN6hipcub18WarpStoreAlgorithmE1EiEvPT3_.has_dyn_sized_stack, 0
	.set _Z17warp_store_kernelILj256ELj8ELj64ELN6hipcub18WarpStoreAlgorithmE1EiEvPT3_.has_recursion, 0
	.set _Z17warp_store_kernelILj256ELj8ELj64ELN6hipcub18WarpStoreAlgorithmE1EiEvPT3_.has_indirect_call, 0
	.section	.AMDGPU.csdata,"",@progbits
; Kernel info:
; codeLenInByte = 200
; TotalNumSgprs: 11
; NumVgprs: 8
; ScratchSize: 0
; MemoryBound: 0
; FloatMode: 240
; IeeeMode: 1
; LDSByteSize: 0 bytes/workgroup (compile time only)
; SGPRBlocks: 1
; VGPRBlocks: 1
; NumSGPRsForWavesPerEU: 11
; NumVGPRsForWavesPerEU: 8
; Occupancy: 10
; WaveLimiterHint : 1
; COMPUTE_PGM_RSRC2:SCRATCH_EN: 0
; COMPUTE_PGM_RSRC2:USER_SGPR: 6
; COMPUTE_PGM_RSRC2:TRAP_HANDLER: 0
; COMPUTE_PGM_RSRC2:TGID_X_EN: 1
; COMPUTE_PGM_RSRC2:TGID_Y_EN: 0
; COMPUTE_PGM_RSRC2:TGID_Z_EN: 0
; COMPUTE_PGM_RSRC2:TIDIG_COMP_CNT: 0
	.section	.text._Z17warp_store_kernelILj256ELj8ELj64ELN6hipcub18WarpStoreAlgorithmE2EiEvPT3_,"axG",@progbits,_Z17warp_store_kernelILj256ELj8ELj64ELN6hipcub18WarpStoreAlgorithmE2EiEvPT3_,comdat
	.protected	_Z17warp_store_kernelILj256ELj8ELj64ELN6hipcub18WarpStoreAlgorithmE2EiEvPT3_ ; -- Begin function _Z17warp_store_kernelILj256ELj8ELj64ELN6hipcub18WarpStoreAlgorithmE2EiEvPT3_
	.globl	_Z17warp_store_kernelILj256ELj8ELj64ELN6hipcub18WarpStoreAlgorithmE2EiEvPT3_
	.p2align	8
	.type	_Z17warp_store_kernelILj256ELj8ELj64ELN6hipcub18WarpStoreAlgorithmE2EiEvPT3_,@function
_Z17warp_store_kernelILj256ELj8ELj64ELN6hipcub18WarpStoreAlgorithmE2EiEvPT3_: ; @_Z17warp_store_kernelILj256ELj8ELj64ELN6hipcub18WarpStoreAlgorithmE2EiEvPT3_
; %bb.0:
	s_load_dwordx2 s[0:1], s[4:5], 0x0
	v_lshlrev_b32_e32 v0, 3, v0
	v_and_b32_e32 v0, 0x600, v0
	v_mbcnt_lo_u32_b32 v1, -1, 0
	v_lshl_or_b32 v3, s6, 11, v0
	v_mov_b32_e32 v4, 0
	v_mbcnt_hi_u32_b32 v2, -1, v1
	v_lshlrev_b64 v[0:1], 2, v[3:4]
	s_waitcnt lgkmcnt(0)
	v_mov_b32_e32 v3, s1
	v_add_co_u32_e32 v0, vcc, s0, v0
	v_addc_co_u32_e32 v1, vcc, v3, v1, vcc
	v_lshlrev_b32_e32 v2, 5, v2
	v_add_co_u32_e32 v5, vcc, v0, v2
	v_addc_co_u32_e32 v6, vcc, 0, v1, vcc
	v_mov_b32_e32 v1, 1
	v_mov_b32_e32 v2, 2
	;; [unrolled: 1-line block ×4, first 2 shown]
	global_store_dwordx4 v[5:6], v[0:3], off
	s_nop 0
	v_mov_b32_e32 v0, 4
	v_mov_b32_e32 v1, 5
	;; [unrolled: 1-line block ×4, first 2 shown]
	global_store_dwordx4 v[5:6], v[0:3], off offset:16
	s_endpgm
	.section	.rodata,"a",@progbits
	.p2align	6, 0x0
	.amdhsa_kernel _Z17warp_store_kernelILj256ELj8ELj64ELN6hipcub18WarpStoreAlgorithmE2EiEvPT3_
		.amdhsa_group_segment_fixed_size 0
		.amdhsa_private_segment_fixed_size 0
		.amdhsa_kernarg_size 8
		.amdhsa_user_sgpr_count 6
		.amdhsa_user_sgpr_private_segment_buffer 1
		.amdhsa_user_sgpr_dispatch_ptr 0
		.amdhsa_user_sgpr_queue_ptr 0
		.amdhsa_user_sgpr_kernarg_segment_ptr 1
		.amdhsa_user_sgpr_dispatch_id 0
		.amdhsa_user_sgpr_flat_scratch_init 0
		.amdhsa_user_sgpr_private_segment_size 0
		.amdhsa_uses_dynamic_stack 0
		.amdhsa_system_sgpr_private_segment_wavefront_offset 0
		.amdhsa_system_sgpr_workgroup_id_x 1
		.amdhsa_system_sgpr_workgroup_id_y 0
		.amdhsa_system_sgpr_workgroup_id_z 0
		.amdhsa_system_sgpr_workgroup_info 0
		.amdhsa_system_vgpr_workitem_id 0
		.amdhsa_next_free_vgpr 7
		.amdhsa_next_free_sgpr 7
		.amdhsa_reserve_vcc 1
		.amdhsa_reserve_flat_scratch 0
		.amdhsa_float_round_mode_32 0
		.amdhsa_float_round_mode_16_64 0
		.amdhsa_float_denorm_mode_32 3
		.amdhsa_float_denorm_mode_16_64 3
		.amdhsa_dx10_clamp 1
		.amdhsa_ieee_mode 1
		.amdhsa_fp16_overflow 0
		.amdhsa_exception_fp_ieee_invalid_op 0
		.amdhsa_exception_fp_denorm_src 0
		.amdhsa_exception_fp_ieee_div_zero 0
		.amdhsa_exception_fp_ieee_overflow 0
		.amdhsa_exception_fp_ieee_underflow 0
		.amdhsa_exception_fp_ieee_inexact 0
		.amdhsa_exception_int_div_zero 0
	.end_amdhsa_kernel
	.section	.text._Z17warp_store_kernelILj256ELj8ELj64ELN6hipcub18WarpStoreAlgorithmE2EiEvPT3_,"axG",@progbits,_Z17warp_store_kernelILj256ELj8ELj64ELN6hipcub18WarpStoreAlgorithmE2EiEvPT3_,comdat
.Lfunc_end43:
	.size	_Z17warp_store_kernelILj256ELj8ELj64ELN6hipcub18WarpStoreAlgorithmE2EiEvPT3_, .Lfunc_end43-_Z17warp_store_kernelILj256ELj8ELj64ELN6hipcub18WarpStoreAlgorithmE2EiEvPT3_
                                        ; -- End function
	.set _Z17warp_store_kernelILj256ELj8ELj64ELN6hipcub18WarpStoreAlgorithmE2EiEvPT3_.num_vgpr, 7
	.set _Z17warp_store_kernelILj256ELj8ELj64ELN6hipcub18WarpStoreAlgorithmE2EiEvPT3_.num_agpr, 0
	.set _Z17warp_store_kernelILj256ELj8ELj64ELN6hipcub18WarpStoreAlgorithmE2EiEvPT3_.numbered_sgpr, 7
	.set _Z17warp_store_kernelILj256ELj8ELj64ELN6hipcub18WarpStoreAlgorithmE2EiEvPT3_.num_named_barrier, 0
	.set _Z17warp_store_kernelILj256ELj8ELj64ELN6hipcub18WarpStoreAlgorithmE2EiEvPT3_.private_seg_size, 0
	.set _Z17warp_store_kernelILj256ELj8ELj64ELN6hipcub18WarpStoreAlgorithmE2EiEvPT3_.uses_vcc, 1
	.set _Z17warp_store_kernelILj256ELj8ELj64ELN6hipcub18WarpStoreAlgorithmE2EiEvPT3_.uses_flat_scratch, 0
	.set _Z17warp_store_kernelILj256ELj8ELj64ELN6hipcub18WarpStoreAlgorithmE2EiEvPT3_.has_dyn_sized_stack, 0
	.set _Z17warp_store_kernelILj256ELj8ELj64ELN6hipcub18WarpStoreAlgorithmE2EiEvPT3_.has_recursion, 0
	.set _Z17warp_store_kernelILj256ELj8ELj64ELN6hipcub18WarpStoreAlgorithmE2EiEvPT3_.has_indirect_call, 0
	.section	.AMDGPU.csdata,"",@progbits
; Kernel info:
; codeLenInByte = 140
; TotalNumSgprs: 11
; NumVgprs: 7
; ScratchSize: 0
; MemoryBound: 0
; FloatMode: 240
; IeeeMode: 1
; LDSByteSize: 0 bytes/workgroup (compile time only)
; SGPRBlocks: 1
; VGPRBlocks: 1
; NumSGPRsForWavesPerEU: 11
; NumVGPRsForWavesPerEU: 7
; Occupancy: 10
; WaveLimiterHint : 0
; COMPUTE_PGM_RSRC2:SCRATCH_EN: 0
; COMPUTE_PGM_RSRC2:USER_SGPR: 6
; COMPUTE_PGM_RSRC2:TRAP_HANDLER: 0
; COMPUTE_PGM_RSRC2:TGID_X_EN: 1
; COMPUTE_PGM_RSRC2:TGID_Y_EN: 0
; COMPUTE_PGM_RSRC2:TGID_Z_EN: 0
; COMPUTE_PGM_RSRC2:TIDIG_COMP_CNT: 0
	.section	.text._Z17warp_store_kernelILj256ELj8ELj64ELN6hipcub18WarpStoreAlgorithmE3EiEvPT3_,"axG",@progbits,_Z17warp_store_kernelILj256ELj8ELj64ELN6hipcub18WarpStoreAlgorithmE3EiEvPT3_,comdat
	.protected	_Z17warp_store_kernelILj256ELj8ELj64ELN6hipcub18WarpStoreAlgorithmE3EiEvPT3_ ; -- Begin function _Z17warp_store_kernelILj256ELj8ELj64ELN6hipcub18WarpStoreAlgorithmE3EiEvPT3_
	.globl	_Z17warp_store_kernelILj256ELj8ELj64ELN6hipcub18WarpStoreAlgorithmE3EiEvPT3_
	.p2align	8
	.type	_Z17warp_store_kernelILj256ELj8ELj64ELN6hipcub18WarpStoreAlgorithmE3EiEvPT3_,@function
_Z17warp_store_kernelILj256ELj8ELj64ELN6hipcub18WarpStoreAlgorithmE3EiEvPT3_: ; @_Z17warp_store_kernelILj256ELj8ELj64ELN6hipcub18WarpStoreAlgorithmE3EiEvPT3_
; %bb.0:
	s_load_dwordx2 s[0:1], s[4:5], 0x0
	v_lshrrev_b32_e32 v0, 6, v0
	s_lshl_b32 s2, s6, 11
	v_mbcnt_lo_u32_b32 v1, -1, 0
	v_lshl_or_b32 v3, v0, 9, s2
	v_mov_b32_e32 v4, 0
	v_lshlrev_b32_e32 v5, 11, v0
	v_mbcnt_hi_u32_b32 v6, -1, v1
	v_lshlrev_b64 v[0:1], 2, v[3:4]
	s_waitcnt lgkmcnt(0)
	v_mov_b32_e32 v2, s1
	v_add_co_u32_e32 v8, vcc, s0, v0
	v_lshlrev_b32_e32 v10, 5, v6
	v_addc_co_u32_e32 v9, vcc, v2, v1, vcc
	v_add_u32_e32 v7, v5, v10
	v_mov_b32_e32 v1, 1
	v_mov_b32_e32 v2, 2
	;; [unrolled: 1-line block ×4, first 2 shown]
	v_lshlrev_b32_e32 v11, 2, v6
	ds_write_b128 v7, v[0:3]
	v_mov_b32_e32 v0, 4
	v_mov_b32_e32 v1, 5
	;; [unrolled: 1-line block ×4, first 2 shown]
	v_or_b32_e32 v6, v5, v11
	ds_write_b128 v7, v[0:3] offset:16
	; wave barrier
	ds_read2st64_b32 v[0:1], v6 offset1:1
	ds_read2st64_b32 v[2:3], v6 offset0:2 offset1:3
	ds_read2st64_b32 v[4:5], v6 offset0:4 offset1:5
	;; [unrolled: 1-line block ×3, first 2 shown]
	v_add_co_u32_e32 v8, vcc, v8, v11
	v_addc_co_u32_e32 v9, vcc, 0, v9, vcc
	v_and_b32_e32 v10, 0x800, v10
	v_add_co_u32_e32 v8, vcc, v8, v10
	v_addc_co_u32_e32 v9, vcc, 0, v9, vcc
	s_waitcnt lgkmcnt(3)
	global_store_dword v[8:9], v0, off
	global_store_dword v[8:9], v1, off offset:256
	s_waitcnt lgkmcnt(2)
	global_store_dword v[8:9], v2, off offset:512
	global_store_dword v[8:9], v3, off offset:768
	s_waitcnt lgkmcnt(1)
	global_store_dword v[8:9], v4, off offset:1024
	;; [unrolled: 3-line block ×3, first 2 shown]
	global_store_dword v[8:9], v7, off offset:1792
	s_endpgm
	.section	.rodata,"a",@progbits
	.p2align	6, 0x0
	.amdhsa_kernel _Z17warp_store_kernelILj256ELj8ELj64ELN6hipcub18WarpStoreAlgorithmE3EiEvPT3_
		.amdhsa_group_segment_fixed_size 8192
		.amdhsa_private_segment_fixed_size 0
		.amdhsa_kernarg_size 8
		.amdhsa_user_sgpr_count 6
		.amdhsa_user_sgpr_private_segment_buffer 1
		.amdhsa_user_sgpr_dispatch_ptr 0
		.amdhsa_user_sgpr_queue_ptr 0
		.amdhsa_user_sgpr_kernarg_segment_ptr 1
		.amdhsa_user_sgpr_dispatch_id 0
		.amdhsa_user_sgpr_flat_scratch_init 0
		.amdhsa_user_sgpr_private_segment_size 0
		.amdhsa_uses_dynamic_stack 0
		.amdhsa_system_sgpr_private_segment_wavefront_offset 0
		.amdhsa_system_sgpr_workgroup_id_x 1
		.amdhsa_system_sgpr_workgroup_id_y 0
		.amdhsa_system_sgpr_workgroup_id_z 0
		.amdhsa_system_sgpr_workgroup_info 0
		.amdhsa_system_vgpr_workitem_id 0
		.amdhsa_next_free_vgpr 29
		.amdhsa_next_free_sgpr 61
		.amdhsa_reserve_vcc 1
		.amdhsa_reserve_flat_scratch 0
		.amdhsa_float_round_mode_32 0
		.amdhsa_float_round_mode_16_64 0
		.amdhsa_float_denorm_mode_32 3
		.amdhsa_float_denorm_mode_16_64 3
		.amdhsa_dx10_clamp 1
		.amdhsa_ieee_mode 1
		.amdhsa_fp16_overflow 0
		.amdhsa_exception_fp_ieee_invalid_op 0
		.amdhsa_exception_fp_denorm_src 0
		.amdhsa_exception_fp_ieee_div_zero 0
		.amdhsa_exception_fp_ieee_overflow 0
		.amdhsa_exception_fp_ieee_underflow 0
		.amdhsa_exception_fp_ieee_inexact 0
		.amdhsa_exception_int_div_zero 0
	.end_amdhsa_kernel
	.section	.text._Z17warp_store_kernelILj256ELj8ELj64ELN6hipcub18WarpStoreAlgorithmE3EiEvPT3_,"axG",@progbits,_Z17warp_store_kernelILj256ELj8ELj64ELN6hipcub18WarpStoreAlgorithmE3EiEvPT3_,comdat
.Lfunc_end44:
	.size	_Z17warp_store_kernelILj256ELj8ELj64ELN6hipcub18WarpStoreAlgorithmE3EiEvPT3_, .Lfunc_end44-_Z17warp_store_kernelILj256ELj8ELj64ELN6hipcub18WarpStoreAlgorithmE3EiEvPT3_
                                        ; -- End function
	.set _Z17warp_store_kernelILj256ELj8ELj64ELN6hipcub18WarpStoreAlgorithmE3EiEvPT3_.num_vgpr, 12
	.set _Z17warp_store_kernelILj256ELj8ELj64ELN6hipcub18WarpStoreAlgorithmE3EiEvPT3_.num_agpr, 0
	.set _Z17warp_store_kernelILj256ELj8ELj64ELN6hipcub18WarpStoreAlgorithmE3EiEvPT3_.numbered_sgpr, 7
	.set _Z17warp_store_kernelILj256ELj8ELj64ELN6hipcub18WarpStoreAlgorithmE3EiEvPT3_.num_named_barrier, 0
	.set _Z17warp_store_kernelILj256ELj8ELj64ELN6hipcub18WarpStoreAlgorithmE3EiEvPT3_.private_seg_size, 0
	.set _Z17warp_store_kernelILj256ELj8ELj64ELN6hipcub18WarpStoreAlgorithmE3EiEvPT3_.uses_vcc, 1
	.set _Z17warp_store_kernelILj256ELj8ELj64ELN6hipcub18WarpStoreAlgorithmE3EiEvPT3_.uses_flat_scratch, 0
	.set _Z17warp_store_kernelILj256ELj8ELj64ELN6hipcub18WarpStoreAlgorithmE3EiEvPT3_.has_dyn_sized_stack, 0
	.set _Z17warp_store_kernelILj256ELj8ELj64ELN6hipcub18WarpStoreAlgorithmE3EiEvPT3_.has_recursion, 0
	.set _Z17warp_store_kernelILj256ELj8ELj64ELN6hipcub18WarpStoreAlgorithmE3EiEvPT3_.has_indirect_call, 0
	.section	.AMDGPU.csdata,"",@progbits
; Kernel info:
; codeLenInByte = 276
; TotalNumSgprs: 11
; NumVgprs: 12
; ScratchSize: 0
; MemoryBound: 1
; FloatMode: 240
; IeeeMode: 1
; LDSByteSize: 8192 bytes/workgroup (compile time only)
; SGPRBlocks: 8
; VGPRBlocks: 7
; NumSGPRsForWavesPerEU: 65
; NumVGPRsForWavesPerEU: 29
; Occupancy: 8
; WaveLimiterHint : 1
; COMPUTE_PGM_RSRC2:SCRATCH_EN: 0
; COMPUTE_PGM_RSRC2:USER_SGPR: 6
; COMPUTE_PGM_RSRC2:TRAP_HANDLER: 0
; COMPUTE_PGM_RSRC2:TGID_X_EN: 1
; COMPUTE_PGM_RSRC2:TGID_Y_EN: 0
; COMPUTE_PGM_RSRC2:TGID_Z_EN: 0
; COMPUTE_PGM_RSRC2:TIDIG_COMP_CNT: 0
	.section	.text._Z17warp_store_kernelILj256ELj16ELj64ELN6hipcub18WarpStoreAlgorithmE0EiEvPT3_,"axG",@progbits,_Z17warp_store_kernelILj256ELj16ELj64ELN6hipcub18WarpStoreAlgorithmE0EiEvPT3_,comdat
	.protected	_Z17warp_store_kernelILj256ELj16ELj64ELN6hipcub18WarpStoreAlgorithmE0EiEvPT3_ ; -- Begin function _Z17warp_store_kernelILj256ELj16ELj64ELN6hipcub18WarpStoreAlgorithmE0EiEvPT3_
	.globl	_Z17warp_store_kernelILj256ELj16ELj64ELN6hipcub18WarpStoreAlgorithmE0EiEvPT3_
	.p2align	8
	.type	_Z17warp_store_kernelILj256ELj16ELj64ELN6hipcub18WarpStoreAlgorithmE0EiEvPT3_,@function
_Z17warp_store_kernelILj256ELj16ELj64ELN6hipcub18WarpStoreAlgorithmE0EiEvPT3_: ; @_Z17warp_store_kernelILj256ELj16ELj64ELN6hipcub18WarpStoreAlgorithmE0EiEvPT3_
; %bb.0:
	s_load_dwordx2 s[0:1], s[4:5], 0x0
	v_lshlrev_b32_e32 v0, 4, v0
	v_and_b32_e32 v0, 0xc00, v0
	v_mbcnt_lo_u32_b32 v1, -1, 0
	v_lshl_or_b32 v3, s6, 12, v0
	v_mov_b32_e32 v4, 0
	v_mbcnt_hi_u32_b32 v2, -1, v1
	v_lshlrev_b64 v[0:1], 2, v[3:4]
	s_waitcnt lgkmcnt(0)
	v_mov_b32_e32 v3, s1
	v_add_co_u32_e32 v0, vcc, s0, v0
	v_addc_co_u32_e32 v1, vcc, v3, v1, vcc
	v_lshlrev_b32_e32 v2, 6, v2
	v_add_co_u32_e32 v5, vcc, v0, v2
	v_addc_co_u32_e32 v6, vcc, 0, v1, vcc
	v_mov_b32_e32 v1, 1
	v_mov_b32_e32 v2, 2
	v_mov_b32_e32 v3, 3
	v_mov_b32_e32 v0, v4
	global_store_dwordx4 v[5:6], v[0:3], off
	s_nop 0
	v_mov_b32_e32 v0, 4
	v_mov_b32_e32 v1, 5
	v_mov_b32_e32 v2, 6
	v_mov_b32_e32 v3, 7
	global_store_dwordx4 v[5:6], v[0:3], off offset:16
	s_nop 0
	v_mov_b32_e32 v0, 8
	v_mov_b32_e32 v1, 9
	v_mov_b32_e32 v2, 10
	v_mov_b32_e32 v3, 11
	global_store_dwordx4 v[5:6], v[0:3], off offset:32
	;; [unrolled: 6-line block ×3, first 2 shown]
	s_endpgm
	.section	.rodata,"a",@progbits
	.p2align	6, 0x0
	.amdhsa_kernel _Z17warp_store_kernelILj256ELj16ELj64ELN6hipcub18WarpStoreAlgorithmE0EiEvPT3_
		.amdhsa_group_segment_fixed_size 0
		.amdhsa_private_segment_fixed_size 0
		.amdhsa_kernarg_size 8
		.amdhsa_user_sgpr_count 6
		.amdhsa_user_sgpr_private_segment_buffer 1
		.amdhsa_user_sgpr_dispatch_ptr 0
		.amdhsa_user_sgpr_queue_ptr 0
		.amdhsa_user_sgpr_kernarg_segment_ptr 1
		.amdhsa_user_sgpr_dispatch_id 0
		.amdhsa_user_sgpr_flat_scratch_init 0
		.amdhsa_user_sgpr_private_segment_size 0
		.amdhsa_uses_dynamic_stack 0
		.amdhsa_system_sgpr_private_segment_wavefront_offset 0
		.amdhsa_system_sgpr_workgroup_id_x 1
		.amdhsa_system_sgpr_workgroup_id_y 0
		.amdhsa_system_sgpr_workgroup_id_z 0
		.amdhsa_system_sgpr_workgroup_info 0
		.amdhsa_system_vgpr_workitem_id 0
		.amdhsa_next_free_vgpr 7
		.amdhsa_next_free_sgpr 7
		.amdhsa_reserve_vcc 1
		.amdhsa_reserve_flat_scratch 0
		.amdhsa_float_round_mode_32 0
		.amdhsa_float_round_mode_16_64 0
		.amdhsa_float_denorm_mode_32 3
		.amdhsa_float_denorm_mode_16_64 3
		.amdhsa_dx10_clamp 1
		.amdhsa_ieee_mode 1
		.amdhsa_fp16_overflow 0
		.amdhsa_exception_fp_ieee_invalid_op 0
		.amdhsa_exception_fp_denorm_src 0
		.amdhsa_exception_fp_ieee_div_zero 0
		.amdhsa_exception_fp_ieee_overflow 0
		.amdhsa_exception_fp_ieee_underflow 0
		.amdhsa_exception_fp_ieee_inexact 0
		.amdhsa_exception_int_div_zero 0
	.end_amdhsa_kernel
	.section	.text._Z17warp_store_kernelILj256ELj16ELj64ELN6hipcub18WarpStoreAlgorithmE0EiEvPT3_,"axG",@progbits,_Z17warp_store_kernelILj256ELj16ELj64ELN6hipcub18WarpStoreAlgorithmE0EiEvPT3_,comdat
.Lfunc_end45:
	.size	_Z17warp_store_kernelILj256ELj16ELj64ELN6hipcub18WarpStoreAlgorithmE0EiEvPT3_, .Lfunc_end45-_Z17warp_store_kernelILj256ELj16ELj64ELN6hipcub18WarpStoreAlgorithmE0EiEvPT3_
                                        ; -- End function
	.set _Z17warp_store_kernelILj256ELj16ELj64ELN6hipcub18WarpStoreAlgorithmE0EiEvPT3_.num_vgpr, 7
	.set _Z17warp_store_kernelILj256ELj16ELj64ELN6hipcub18WarpStoreAlgorithmE0EiEvPT3_.num_agpr, 0
	.set _Z17warp_store_kernelILj256ELj16ELj64ELN6hipcub18WarpStoreAlgorithmE0EiEvPT3_.numbered_sgpr, 7
	.set _Z17warp_store_kernelILj256ELj16ELj64ELN6hipcub18WarpStoreAlgorithmE0EiEvPT3_.num_named_barrier, 0
	.set _Z17warp_store_kernelILj256ELj16ELj64ELN6hipcub18WarpStoreAlgorithmE0EiEvPT3_.private_seg_size, 0
	.set _Z17warp_store_kernelILj256ELj16ELj64ELN6hipcub18WarpStoreAlgorithmE0EiEvPT3_.uses_vcc, 1
	.set _Z17warp_store_kernelILj256ELj16ELj64ELN6hipcub18WarpStoreAlgorithmE0EiEvPT3_.uses_flat_scratch, 0
	.set _Z17warp_store_kernelILj256ELj16ELj64ELN6hipcub18WarpStoreAlgorithmE0EiEvPT3_.has_dyn_sized_stack, 0
	.set _Z17warp_store_kernelILj256ELj16ELj64ELN6hipcub18WarpStoreAlgorithmE0EiEvPT3_.has_recursion, 0
	.set _Z17warp_store_kernelILj256ELj16ELj64ELN6hipcub18WarpStoreAlgorithmE0EiEvPT3_.has_indirect_call, 0
	.section	.AMDGPU.csdata,"",@progbits
; Kernel info:
; codeLenInByte = 196
; TotalNumSgprs: 11
; NumVgprs: 7
; ScratchSize: 0
; MemoryBound: 1
; FloatMode: 240
; IeeeMode: 1
; LDSByteSize: 0 bytes/workgroup (compile time only)
; SGPRBlocks: 1
; VGPRBlocks: 1
; NumSGPRsForWavesPerEU: 11
; NumVGPRsForWavesPerEU: 7
; Occupancy: 10
; WaveLimiterHint : 1
; COMPUTE_PGM_RSRC2:SCRATCH_EN: 0
; COMPUTE_PGM_RSRC2:USER_SGPR: 6
; COMPUTE_PGM_RSRC2:TRAP_HANDLER: 0
; COMPUTE_PGM_RSRC2:TGID_X_EN: 1
; COMPUTE_PGM_RSRC2:TGID_Y_EN: 0
; COMPUTE_PGM_RSRC2:TGID_Z_EN: 0
; COMPUTE_PGM_RSRC2:TIDIG_COMP_CNT: 0
	.section	.text._Z17warp_store_kernelILj256ELj16ELj64ELN6hipcub18WarpStoreAlgorithmE1EiEvPT3_,"axG",@progbits,_Z17warp_store_kernelILj256ELj16ELj64ELN6hipcub18WarpStoreAlgorithmE1EiEvPT3_,comdat
	.protected	_Z17warp_store_kernelILj256ELj16ELj64ELN6hipcub18WarpStoreAlgorithmE1EiEvPT3_ ; -- Begin function _Z17warp_store_kernelILj256ELj16ELj64ELN6hipcub18WarpStoreAlgorithmE1EiEvPT3_
	.globl	_Z17warp_store_kernelILj256ELj16ELj64ELN6hipcub18WarpStoreAlgorithmE1EiEvPT3_
	.p2align	8
	.type	_Z17warp_store_kernelILj256ELj16ELj64ELN6hipcub18WarpStoreAlgorithmE1EiEvPT3_,@function
_Z17warp_store_kernelILj256ELj16ELj64ELN6hipcub18WarpStoreAlgorithmE1EiEvPT3_: ; @_Z17warp_store_kernelILj256ELj16ELj64ELN6hipcub18WarpStoreAlgorithmE1EiEvPT3_
; %bb.0:
	s_load_dwordx2 s[0:1], s[4:5], 0x0
	v_lshlrev_b32_e32 v0, 4, v0
	v_and_b32_e32 v0, 0xc00, v0
	v_mov_b32_e32 v1, 0
	v_mbcnt_lo_u32_b32 v2, -1, 0
	v_lshl_or_b32 v0, s6, 12, v0
	v_mbcnt_hi_u32_b32 v4, -1, v2
	v_lshlrev_b64 v[2:3], 2, v[0:1]
	s_waitcnt lgkmcnt(0)
	v_mov_b32_e32 v0, s1
	v_add_co_u32_e32 v2, vcc, s0, v2
	v_addc_co_u32_e32 v0, vcc, v0, v3, vcc
	v_lshlrev_b32_e32 v3, 2, v4
	v_add_co_u32_e32 v2, vcc, v2, v3
	v_lshlrev_b32_e32 v3, 6, v4
	v_addc_co_u32_e32 v0, vcc, 0, v0, vcc
	v_and_b32_e32 v3, 0x1000, v3
	v_add_co_u32_e32 v2, vcc, v2, v3
	v_addc_co_u32_e32 v3, vcc, 0, v0, vcc
	v_mov_b32_e32 v0, 1
	v_mov_b32_e32 v7, 2
	global_store_dword v[2:3], v1, off
	global_store_dword v[2:3], v0, off offset:256
	global_store_dword v[2:3], v7, off offset:512
	v_mov_b32_e32 v0, 3
	v_mov_b32_e32 v5, 4
	global_store_dword v[2:3], v0, off offset:768
	global_store_dword v[2:3], v5, off offset:1024
	v_mov_b32_e32 v0, 5
	v_mov_b32_e32 v8, 6
	global_store_dword v[2:3], v0, off offset:1280
	global_store_dword v[2:3], v8, off offset:1536
	v_mov_b32_e32 v0, 7
	global_store_dword v[2:3], v0, off offset:1792
	v_mov_b32_e32 v0, 8
	;; [unrolled: 2-line block ×5, first 2 shown]
	v_mov_b32_e32 v6, 12
	global_store_dword v[2:3], v0, off offset:2816
	global_store_dword v[2:3], v6, off offset:3072
	v_mov_b32_e32 v0, 13
	global_store_dword v[2:3], v0, off offset:3328
	v_mov_b32_e32 v0, 14
	;; [unrolled: 2-line block ×3, first 2 shown]
	global_store_dword v[2:3], v0, off offset:3840
	s_endpgm
	.section	.rodata,"a",@progbits
	.p2align	6, 0x0
	.amdhsa_kernel _Z17warp_store_kernelILj256ELj16ELj64ELN6hipcub18WarpStoreAlgorithmE1EiEvPT3_
		.amdhsa_group_segment_fixed_size 0
		.amdhsa_private_segment_fixed_size 0
		.amdhsa_kernarg_size 8
		.amdhsa_user_sgpr_count 6
		.amdhsa_user_sgpr_private_segment_buffer 1
		.amdhsa_user_sgpr_dispatch_ptr 0
		.amdhsa_user_sgpr_queue_ptr 0
		.amdhsa_user_sgpr_kernarg_segment_ptr 1
		.amdhsa_user_sgpr_dispatch_id 0
		.amdhsa_user_sgpr_flat_scratch_init 0
		.amdhsa_user_sgpr_private_segment_size 0
		.amdhsa_uses_dynamic_stack 0
		.amdhsa_system_sgpr_private_segment_wavefront_offset 0
		.amdhsa_system_sgpr_workgroup_id_x 1
		.amdhsa_system_sgpr_workgroup_id_y 0
		.amdhsa_system_sgpr_workgroup_id_z 0
		.amdhsa_system_sgpr_workgroup_info 0
		.amdhsa_system_vgpr_workitem_id 0
		.amdhsa_next_free_vgpr 9
		.amdhsa_next_free_sgpr 7
		.amdhsa_reserve_vcc 1
		.amdhsa_reserve_flat_scratch 0
		.amdhsa_float_round_mode_32 0
		.amdhsa_float_round_mode_16_64 0
		.amdhsa_float_denorm_mode_32 3
		.amdhsa_float_denorm_mode_16_64 3
		.amdhsa_dx10_clamp 1
		.amdhsa_ieee_mode 1
		.amdhsa_fp16_overflow 0
		.amdhsa_exception_fp_ieee_invalid_op 0
		.amdhsa_exception_fp_denorm_src 0
		.amdhsa_exception_fp_ieee_div_zero 0
		.amdhsa_exception_fp_ieee_overflow 0
		.amdhsa_exception_fp_ieee_underflow 0
		.amdhsa_exception_fp_ieee_inexact 0
		.amdhsa_exception_int_div_zero 0
	.end_amdhsa_kernel
	.section	.text._Z17warp_store_kernelILj256ELj16ELj64ELN6hipcub18WarpStoreAlgorithmE1EiEvPT3_,"axG",@progbits,_Z17warp_store_kernelILj256ELj16ELj64ELN6hipcub18WarpStoreAlgorithmE1EiEvPT3_,comdat
.Lfunc_end46:
	.size	_Z17warp_store_kernelILj256ELj16ELj64ELN6hipcub18WarpStoreAlgorithmE1EiEvPT3_, .Lfunc_end46-_Z17warp_store_kernelILj256ELj16ELj64ELN6hipcub18WarpStoreAlgorithmE1EiEvPT3_
                                        ; -- End function
	.set _Z17warp_store_kernelILj256ELj16ELj64ELN6hipcub18WarpStoreAlgorithmE1EiEvPT3_.num_vgpr, 9
	.set _Z17warp_store_kernelILj256ELj16ELj64ELN6hipcub18WarpStoreAlgorithmE1EiEvPT3_.num_agpr, 0
	.set _Z17warp_store_kernelILj256ELj16ELj64ELN6hipcub18WarpStoreAlgorithmE1EiEvPT3_.numbered_sgpr, 7
	.set _Z17warp_store_kernelILj256ELj16ELj64ELN6hipcub18WarpStoreAlgorithmE1EiEvPT3_.num_named_barrier, 0
	.set _Z17warp_store_kernelILj256ELj16ELj64ELN6hipcub18WarpStoreAlgorithmE1EiEvPT3_.private_seg_size, 0
	.set _Z17warp_store_kernelILj256ELj16ELj64ELN6hipcub18WarpStoreAlgorithmE1EiEvPT3_.uses_vcc, 1
	.set _Z17warp_store_kernelILj256ELj16ELj64ELN6hipcub18WarpStoreAlgorithmE1EiEvPT3_.uses_flat_scratch, 0
	.set _Z17warp_store_kernelILj256ELj16ELj64ELN6hipcub18WarpStoreAlgorithmE1EiEvPT3_.has_dyn_sized_stack, 0
	.set _Z17warp_store_kernelILj256ELj16ELj64ELN6hipcub18WarpStoreAlgorithmE1EiEvPT3_.has_recursion, 0
	.set _Z17warp_store_kernelILj256ELj16ELj64ELN6hipcub18WarpStoreAlgorithmE1EiEvPT3_.has_indirect_call, 0
	.section	.AMDGPU.csdata,"",@progbits
; Kernel info:
; codeLenInByte = 296
; TotalNumSgprs: 11
; NumVgprs: 9
; ScratchSize: 0
; MemoryBound: 0
; FloatMode: 240
; IeeeMode: 1
; LDSByteSize: 0 bytes/workgroup (compile time only)
; SGPRBlocks: 1
; VGPRBlocks: 2
; NumSGPRsForWavesPerEU: 11
; NumVGPRsForWavesPerEU: 9
; Occupancy: 10
; WaveLimiterHint : 1
; COMPUTE_PGM_RSRC2:SCRATCH_EN: 0
; COMPUTE_PGM_RSRC2:USER_SGPR: 6
; COMPUTE_PGM_RSRC2:TRAP_HANDLER: 0
; COMPUTE_PGM_RSRC2:TGID_X_EN: 1
; COMPUTE_PGM_RSRC2:TGID_Y_EN: 0
; COMPUTE_PGM_RSRC2:TGID_Z_EN: 0
; COMPUTE_PGM_RSRC2:TIDIG_COMP_CNT: 0
	.section	.text._Z17warp_store_kernelILj256ELj16ELj64ELN6hipcub18WarpStoreAlgorithmE2EiEvPT3_,"axG",@progbits,_Z17warp_store_kernelILj256ELj16ELj64ELN6hipcub18WarpStoreAlgorithmE2EiEvPT3_,comdat
	.protected	_Z17warp_store_kernelILj256ELj16ELj64ELN6hipcub18WarpStoreAlgorithmE2EiEvPT3_ ; -- Begin function _Z17warp_store_kernelILj256ELj16ELj64ELN6hipcub18WarpStoreAlgorithmE2EiEvPT3_
	.globl	_Z17warp_store_kernelILj256ELj16ELj64ELN6hipcub18WarpStoreAlgorithmE2EiEvPT3_
	.p2align	8
	.type	_Z17warp_store_kernelILj256ELj16ELj64ELN6hipcub18WarpStoreAlgorithmE2EiEvPT3_,@function
_Z17warp_store_kernelILj256ELj16ELj64ELN6hipcub18WarpStoreAlgorithmE2EiEvPT3_: ; @_Z17warp_store_kernelILj256ELj16ELj64ELN6hipcub18WarpStoreAlgorithmE2EiEvPT3_
; %bb.0:
	s_load_dwordx2 s[0:1], s[4:5], 0x0
	v_lshlrev_b32_e32 v0, 4, v0
	v_and_b32_e32 v0, 0xc00, v0
	v_mbcnt_lo_u32_b32 v1, -1, 0
	v_lshl_or_b32 v3, s6, 12, v0
	v_mov_b32_e32 v4, 0
	v_mbcnt_hi_u32_b32 v2, -1, v1
	v_lshlrev_b64 v[0:1], 2, v[3:4]
	s_waitcnt lgkmcnt(0)
	v_mov_b32_e32 v3, s1
	v_add_co_u32_e32 v0, vcc, s0, v0
	v_addc_co_u32_e32 v1, vcc, v3, v1, vcc
	v_lshlrev_b32_e32 v2, 6, v2
	v_add_co_u32_e32 v5, vcc, v0, v2
	v_addc_co_u32_e32 v6, vcc, 0, v1, vcc
	v_mov_b32_e32 v1, 1
	v_mov_b32_e32 v2, 2
	;; [unrolled: 1-line block ×4, first 2 shown]
	global_store_dwordx4 v[5:6], v[0:3], off
	s_nop 0
	v_mov_b32_e32 v0, 4
	v_mov_b32_e32 v1, 5
	v_mov_b32_e32 v2, 6
	v_mov_b32_e32 v3, 7
	global_store_dwordx4 v[5:6], v[0:3], off offset:16
	s_nop 0
	v_mov_b32_e32 v0, 8
	v_mov_b32_e32 v1, 9
	v_mov_b32_e32 v2, 10
	v_mov_b32_e32 v3, 11
	global_store_dwordx4 v[5:6], v[0:3], off offset:32
	;; [unrolled: 6-line block ×3, first 2 shown]
	s_endpgm
	.section	.rodata,"a",@progbits
	.p2align	6, 0x0
	.amdhsa_kernel _Z17warp_store_kernelILj256ELj16ELj64ELN6hipcub18WarpStoreAlgorithmE2EiEvPT3_
		.amdhsa_group_segment_fixed_size 0
		.amdhsa_private_segment_fixed_size 0
		.amdhsa_kernarg_size 8
		.amdhsa_user_sgpr_count 6
		.amdhsa_user_sgpr_private_segment_buffer 1
		.amdhsa_user_sgpr_dispatch_ptr 0
		.amdhsa_user_sgpr_queue_ptr 0
		.amdhsa_user_sgpr_kernarg_segment_ptr 1
		.amdhsa_user_sgpr_dispatch_id 0
		.amdhsa_user_sgpr_flat_scratch_init 0
		.amdhsa_user_sgpr_private_segment_size 0
		.amdhsa_uses_dynamic_stack 0
		.amdhsa_system_sgpr_private_segment_wavefront_offset 0
		.amdhsa_system_sgpr_workgroup_id_x 1
		.amdhsa_system_sgpr_workgroup_id_y 0
		.amdhsa_system_sgpr_workgroup_id_z 0
		.amdhsa_system_sgpr_workgroup_info 0
		.amdhsa_system_vgpr_workitem_id 0
		.amdhsa_next_free_vgpr 7
		.amdhsa_next_free_sgpr 7
		.amdhsa_reserve_vcc 1
		.amdhsa_reserve_flat_scratch 0
		.amdhsa_float_round_mode_32 0
		.amdhsa_float_round_mode_16_64 0
		.amdhsa_float_denorm_mode_32 3
		.amdhsa_float_denorm_mode_16_64 3
		.amdhsa_dx10_clamp 1
		.amdhsa_ieee_mode 1
		.amdhsa_fp16_overflow 0
		.amdhsa_exception_fp_ieee_invalid_op 0
		.amdhsa_exception_fp_denorm_src 0
		.amdhsa_exception_fp_ieee_div_zero 0
		.amdhsa_exception_fp_ieee_overflow 0
		.amdhsa_exception_fp_ieee_underflow 0
		.amdhsa_exception_fp_ieee_inexact 0
		.amdhsa_exception_int_div_zero 0
	.end_amdhsa_kernel
	.section	.text._Z17warp_store_kernelILj256ELj16ELj64ELN6hipcub18WarpStoreAlgorithmE2EiEvPT3_,"axG",@progbits,_Z17warp_store_kernelILj256ELj16ELj64ELN6hipcub18WarpStoreAlgorithmE2EiEvPT3_,comdat
.Lfunc_end47:
	.size	_Z17warp_store_kernelILj256ELj16ELj64ELN6hipcub18WarpStoreAlgorithmE2EiEvPT3_, .Lfunc_end47-_Z17warp_store_kernelILj256ELj16ELj64ELN6hipcub18WarpStoreAlgorithmE2EiEvPT3_
                                        ; -- End function
	.set _Z17warp_store_kernelILj256ELj16ELj64ELN6hipcub18WarpStoreAlgorithmE2EiEvPT3_.num_vgpr, 7
	.set _Z17warp_store_kernelILj256ELj16ELj64ELN6hipcub18WarpStoreAlgorithmE2EiEvPT3_.num_agpr, 0
	.set _Z17warp_store_kernelILj256ELj16ELj64ELN6hipcub18WarpStoreAlgorithmE2EiEvPT3_.numbered_sgpr, 7
	.set _Z17warp_store_kernelILj256ELj16ELj64ELN6hipcub18WarpStoreAlgorithmE2EiEvPT3_.num_named_barrier, 0
	.set _Z17warp_store_kernelILj256ELj16ELj64ELN6hipcub18WarpStoreAlgorithmE2EiEvPT3_.private_seg_size, 0
	.set _Z17warp_store_kernelILj256ELj16ELj64ELN6hipcub18WarpStoreAlgorithmE2EiEvPT3_.uses_vcc, 1
	.set _Z17warp_store_kernelILj256ELj16ELj64ELN6hipcub18WarpStoreAlgorithmE2EiEvPT3_.uses_flat_scratch, 0
	.set _Z17warp_store_kernelILj256ELj16ELj64ELN6hipcub18WarpStoreAlgorithmE2EiEvPT3_.has_dyn_sized_stack, 0
	.set _Z17warp_store_kernelILj256ELj16ELj64ELN6hipcub18WarpStoreAlgorithmE2EiEvPT3_.has_recursion, 0
	.set _Z17warp_store_kernelILj256ELj16ELj64ELN6hipcub18WarpStoreAlgorithmE2EiEvPT3_.has_indirect_call, 0
	.section	.AMDGPU.csdata,"",@progbits
; Kernel info:
; codeLenInByte = 196
; TotalNumSgprs: 11
; NumVgprs: 7
; ScratchSize: 0
; MemoryBound: 1
; FloatMode: 240
; IeeeMode: 1
; LDSByteSize: 0 bytes/workgroup (compile time only)
; SGPRBlocks: 1
; VGPRBlocks: 1
; NumSGPRsForWavesPerEU: 11
; NumVGPRsForWavesPerEU: 7
; Occupancy: 10
; WaveLimiterHint : 1
; COMPUTE_PGM_RSRC2:SCRATCH_EN: 0
; COMPUTE_PGM_RSRC2:USER_SGPR: 6
; COMPUTE_PGM_RSRC2:TRAP_HANDLER: 0
; COMPUTE_PGM_RSRC2:TGID_X_EN: 1
; COMPUTE_PGM_RSRC2:TGID_Y_EN: 0
; COMPUTE_PGM_RSRC2:TGID_Z_EN: 0
; COMPUTE_PGM_RSRC2:TIDIG_COMP_CNT: 0
	.section	.text._Z17warp_store_kernelILj256ELj16ELj64ELN6hipcub18WarpStoreAlgorithmE3EiEvPT3_,"axG",@progbits,_Z17warp_store_kernelILj256ELj16ELj64ELN6hipcub18WarpStoreAlgorithmE3EiEvPT3_,comdat
	.protected	_Z17warp_store_kernelILj256ELj16ELj64ELN6hipcub18WarpStoreAlgorithmE3EiEvPT3_ ; -- Begin function _Z17warp_store_kernelILj256ELj16ELj64ELN6hipcub18WarpStoreAlgorithmE3EiEvPT3_
	.globl	_Z17warp_store_kernelILj256ELj16ELj64ELN6hipcub18WarpStoreAlgorithmE3EiEvPT3_
	.p2align	8
	.type	_Z17warp_store_kernelILj256ELj16ELj64ELN6hipcub18WarpStoreAlgorithmE3EiEvPT3_,@function
_Z17warp_store_kernelILj256ELj16ELj64ELN6hipcub18WarpStoreAlgorithmE3EiEvPT3_: ; @_Z17warp_store_kernelILj256ELj16ELj64ELN6hipcub18WarpStoreAlgorithmE3EiEvPT3_
; %bb.0:
	s_load_dwordx2 s[0:1], s[4:5], 0x0
	v_lshrrev_b32_e32 v0, 6, v0
	s_lshl_b32 s2, s6, 12
	v_mbcnt_lo_u32_b32 v1, -1, 0
	v_lshl_or_b32 v3, v0, 10, s2
	v_mov_b32_e32 v4, 0
	v_lshlrev_b32_e32 v5, 12, v0
	v_mbcnt_hi_u32_b32 v6, -1, v1
	v_lshlrev_b64 v[0:1], 2, v[3:4]
	s_waitcnt lgkmcnt(0)
	v_mov_b32_e32 v2, s1
	v_add_co_u32_e32 v16, vcc, s0, v0
	v_lshlrev_b32_e32 v18, 6, v6
	v_addc_co_u32_e32 v17, vcc, v2, v1, vcc
	v_add_u32_e32 v7, v5, v18
	v_mov_b32_e32 v1, 1
	v_mov_b32_e32 v2, 2
	;; [unrolled: 1-line block ×4, first 2 shown]
	ds_write_b128 v7, v[0:3]
	v_mov_b32_e32 v0, 4
	v_mov_b32_e32 v1, 5
	;; [unrolled: 1-line block ×4, first 2 shown]
	ds_write_b128 v7, v[0:3] offset:16
	v_mov_b32_e32 v0, 8
	v_mov_b32_e32 v1, 9
	;; [unrolled: 1-line block ×4, first 2 shown]
	v_lshlrev_b32_e32 v19, 2, v6
	ds_write_b128 v7, v[0:3] offset:32
	v_mov_b32_e32 v0, 12
	v_mov_b32_e32 v1, 13
	;; [unrolled: 1-line block ×4, first 2 shown]
	v_or_b32_e32 v14, v5, v19
	ds_write_b128 v7, v[0:3] offset:48
	; wave barrier
	ds_read2st64_b32 v[0:1], v14 offset1:1
	ds_read2st64_b32 v[2:3], v14 offset0:2 offset1:3
	ds_read2st64_b32 v[4:5], v14 offset0:4 offset1:5
	;; [unrolled: 1-line block ×7, first 2 shown]
	v_add_co_u32_e32 v16, vcc, v16, v19
	v_addc_co_u32_e32 v17, vcc, 0, v17, vcc
	v_and_b32_e32 v18, 0x1000, v18
	v_add_co_u32_e32 v16, vcc, v16, v18
	v_addc_co_u32_e32 v17, vcc, 0, v17, vcc
	s_waitcnt lgkmcnt(7)
	global_store_dword v[16:17], v0, off
	global_store_dword v[16:17], v1, off offset:256
	s_waitcnt lgkmcnt(6)
	global_store_dword v[16:17], v2, off offset:512
	global_store_dword v[16:17], v3, off offset:768
	s_waitcnt lgkmcnt(5)
	global_store_dword v[16:17], v4, off offset:1024
	global_store_dword v[16:17], v5, off offset:1280
	s_waitcnt lgkmcnt(4)
	global_store_dword v[16:17], v6, off offset:1536
	global_store_dword v[16:17], v7, off offset:1792
	s_waitcnt lgkmcnt(3)
	global_store_dword v[16:17], v8, off offset:2048
	global_store_dword v[16:17], v9, off offset:2304
	s_waitcnt lgkmcnt(2)
	global_store_dword v[16:17], v10, off offset:2560
	global_store_dword v[16:17], v11, off offset:2816
	s_waitcnt lgkmcnt(1)
	global_store_dword v[16:17], v12, off offset:3072
	global_store_dword v[16:17], v13, off offset:3328
	s_waitcnt lgkmcnt(0)
	global_store_dword v[16:17], v14, off offset:3584
	global_store_dword v[16:17], v15, off offset:3840
	s_endpgm
	.section	.rodata,"a",@progbits
	.p2align	6, 0x0
	.amdhsa_kernel _Z17warp_store_kernelILj256ELj16ELj64ELN6hipcub18WarpStoreAlgorithmE3EiEvPT3_
		.amdhsa_group_segment_fixed_size 16384
		.amdhsa_private_segment_fixed_size 0
		.amdhsa_kernarg_size 8
		.amdhsa_user_sgpr_count 6
		.amdhsa_user_sgpr_private_segment_buffer 1
		.amdhsa_user_sgpr_dispatch_ptr 0
		.amdhsa_user_sgpr_queue_ptr 0
		.amdhsa_user_sgpr_kernarg_segment_ptr 1
		.amdhsa_user_sgpr_dispatch_id 0
		.amdhsa_user_sgpr_flat_scratch_init 0
		.amdhsa_user_sgpr_private_segment_size 0
		.amdhsa_uses_dynamic_stack 0
		.amdhsa_system_sgpr_private_segment_wavefront_offset 0
		.amdhsa_system_sgpr_workgroup_id_x 1
		.amdhsa_system_sgpr_workgroup_id_y 0
		.amdhsa_system_sgpr_workgroup_id_z 0
		.amdhsa_system_sgpr_workgroup_info 0
		.amdhsa_system_vgpr_workitem_id 0
		.amdhsa_next_free_vgpr 49
		.amdhsa_next_free_sgpr 98
		.amdhsa_reserve_vcc 1
		.amdhsa_reserve_flat_scratch 0
		.amdhsa_float_round_mode_32 0
		.amdhsa_float_round_mode_16_64 0
		.amdhsa_float_denorm_mode_32 3
		.amdhsa_float_denorm_mode_16_64 3
		.amdhsa_dx10_clamp 1
		.amdhsa_ieee_mode 1
		.amdhsa_fp16_overflow 0
		.amdhsa_exception_fp_ieee_invalid_op 0
		.amdhsa_exception_fp_denorm_src 0
		.amdhsa_exception_fp_ieee_div_zero 0
		.amdhsa_exception_fp_ieee_overflow 0
		.amdhsa_exception_fp_ieee_underflow 0
		.amdhsa_exception_fp_ieee_inexact 0
		.amdhsa_exception_int_div_zero 0
	.end_amdhsa_kernel
	.section	.text._Z17warp_store_kernelILj256ELj16ELj64ELN6hipcub18WarpStoreAlgorithmE3EiEvPT3_,"axG",@progbits,_Z17warp_store_kernelILj256ELj16ELj64ELN6hipcub18WarpStoreAlgorithmE3EiEvPT3_,comdat
.Lfunc_end48:
	.size	_Z17warp_store_kernelILj256ELj16ELj64ELN6hipcub18WarpStoreAlgorithmE3EiEvPT3_, .Lfunc_end48-_Z17warp_store_kernelILj256ELj16ELj64ELN6hipcub18WarpStoreAlgorithmE3EiEvPT3_
                                        ; -- End function
	.set _Z17warp_store_kernelILj256ELj16ELj64ELN6hipcub18WarpStoreAlgorithmE3EiEvPT3_.num_vgpr, 20
	.set _Z17warp_store_kernelILj256ELj16ELj64ELN6hipcub18WarpStoreAlgorithmE3EiEvPT3_.num_agpr, 0
	.set _Z17warp_store_kernelILj256ELj16ELj64ELN6hipcub18WarpStoreAlgorithmE3EiEvPT3_.numbered_sgpr, 7
	.set _Z17warp_store_kernelILj256ELj16ELj64ELN6hipcub18WarpStoreAlgorithmE3EiEvPT3_.num_named_barrier, 0
	.set _Z17warp_store_kernelILj256ELj16ELj64ELN6hipcub18WarpStoreAlgorithmE3EiEvPT3_.private_seg_size, 0
	.set _Z17warp_store_kernelILj256ELj16ELj64ELN6hipcub18WarpStoreAlgorithmE3EiEvPT3_.uses_vcc, 1
	.set _Z17warp_store_kernelILj256ELj16ELj64ELN6hipcub18WarpStoreAlgorithmE3EiEvPT3_.uses_flat_scratch, 0
	.set _Z17warp_store_kernelILj256ELj16ELj64ELN6hipcub18WarpStoreAlgorithmE3EiEvPT3_.has_dyn_sized_stack, 0
	.set _Z17warp_store_kernelILj256ELj16ELj64ELN6hipcub18WarpStoreAlgorithmE3EiEvPT3_.has_recursion, 0
	.set _Z17warp_store_kernelILj256ELj16ELj64ELN6hipcub18WarpStoreAlgorithmE3EiEvPT3_.has_indirect_call, 0
	.section	.AMDGPU.csdata,"",@progbits
; Kernel info:
; codeLenInByte = 436
; TotalNumSgprs: 11
; NumVgprs: 20
; ScratchSize: 0
; MemoryBound: 1
; FloatMode: 240
; IeeeMode: 1
; LDSByteSize: 16384 bytes/workgroup (compile time only)
; SGPRBlocks: 12
; VGPRBlocks: 12
; NumSGPRsForWavesPerEU: 102
; NumVGPRsForWavesPerEU: 49
; Occupancy: 4
; WaveLimiterHint : 1
; COMPUTE_PGM_RSRC2:SCRATCH_EN: 0
; COMPUTE_PGM_RSRC2:USER_SGPR: 6
; COMPUTE_PGM_RSRC2:TRAP_HANDLER: 0
; COMPUTE_PGM_RSRC2:TGID_X_EN: 1
; COMPUTE_PGM_RSRC2:TGID_Y_EN: 0
; COMPUTE_PGM_RSRC2:TGID_Z_EN: 0
; COMPUTE_PGM_RSRC2:TIDIG_COMP_CNT: 0
	.section	.text._Z17warp_store_kernelILj256ELj32ELj64ELN6hipcub18WarpStoreAlgorithmE0EiEvPT3_,"axG",@progbits,_Z17warp_store_kernelILj256ELj32ELj64ELN6hipcub18WarpStoreAlgorithmE0EiEvPT3_,comdat
	.protected	_Z17warp_store_kernelILj256ELj32ELj64ELN6hipcub18WarpStoreAlgorithmE0EiEvPT3_ ; -- Begin function _Z17warp_store_kernelILj256ELj32ELj64ELN6hipcub18WarpStoreAlgorithmE0EiEvPT3_
	.globl	_Z17warp_store_kernelILj256ELj32ELj64ELN6hipcub18WarpStoreAlgorithmE0EiEvPT3_
	.p2align	8
	.type	_Z17warp_store_kernelILj256ELj32ELj64ELN6hipcub18WarpStoreAlgorithmE0EiEvPT3_,@function
_Z17warp_store_kernelILj256ELj32ELj64ELN6hipcub18WarpStoreAlgorithmE0EiEvPT3_: ; @_Z17warp_store_kernelILj256ELj32ELj64ELN6hipcub18WarpStoreAlgorithmE0EiEvPT3_
; %bb.0:
	s_load_dwordx2 s[0:1], s[4:5], 0x0
	v_lshlrev_b32_e32 v0, 5, v0
	v_and_b32_e32 v0, 0x1800, v0
	v_mbcnt_lo_u32_b32 v1, -1, 0
	v_lshl_or_b32 v3, s6, 13, v0
	v_mov_b32_e32 v4, 0
	v_mbcnt_hi_u32_b32 v2, -1, v1
	v_lshlrev_b64 v[0:1], 2, v[3:4]
	s_waitcnt lgkmcnt(0)
	v_mov_b32_e32 v3, s1
	v_add_co_u32_e32 v0, vcc, s0, v0
	v_addc_co_u32_e32 v1, vcc, v3, v1, vcc
	v_lshlrev_b32_e32 v2, 7, v2
	v_add_co_u32_e32 v5, vcc, v0, v2
	v_addc_co_u32_e32 v6, vcc, 0, v1, vcc
	v_mov_b32_e32 v1, 1
	v_mov_b32_e32 v2, 2
	;; [unrolled: 1-line block ×4, first 2 shown]
	global_store_dwordx4 v[5:6], v[0:3], off
	s_nop 0
	v_mov_b32_e32 v0, 4
	v_mov_b32_e32 v1, 5
	v_mov_b32_e32 v2, 6
	v_mov_b32_e32 v3, 7
	global_store_dwordx4 v[5:6], v[0:3], off offset:16
	s_nop 0
	v_mov_b32_e32 v0, 8
	v_mov_b32_e32 v1, 9
	v_mov_b32_e32 v2, 10
	v_mov_b32_e32 v3, 11
	global_store_dwordx4 v[5:6], v[0:3], off offset:32
	;; [unrolled: 6-line block ×7, first 2 shown]
	s_endpgm
	.section	.rodata,"a",@progbits
	.p2align	6, 0x0
	.amdhsa_kernel _Z17warp_store_kernelILj256ELj32ELj64ELN6hipcub18WarpStoreAlgorithmE0EiEvPT3_
		.amdhsa_group_segment_fixed_size 0
		.amdhsa_private_segment_fixed_size 0
		.amdhsa_kernarg_size 8
		.amdhsa_user_sgpr_count 6
		.amdhsa_user_sgpr_private_segment_buffer 1
		.amdhsa_user_sgpr_dispatch_ptr 0
		.amdhsa_user_sgpr_queue_ptr 0
		.amdhsa_user_sgpr_kernarg_segment_ptr 1
		.amdhsa_user_sgpr_dispatch_id 0
		.amdhsa_user_sgpr_flat_scratch_init 0
		.amdhsa_user_sgpr_private_segment_size 0
		.amdhsa_uses_dynamic_stack 0
		.amdhsa_system_sgpr_private_segment_wavefront_offset 0
		.amdhsa_system_sgpr_workgroup_id_x 1
		.amdhsa_system_sgpr_workgroup_id_y 0
		.amdhsa_system_sgpr_workgroup_id_z 0
		.amdhsa_system_sgpr_workgroup_info 0
		.amdhsa_system_vgpr_workitem_id 0
		.amdhsa_next_free_vgpr 7
		.amdhsa_next_free_sgpr 7
		.amdhsa_reserve_vcc 1
		.amdhsa_reserve_flat_scratch 0
		.amdhsa_float_round_mode_32 0
		.amdhsa_float_round_mode_16_64 0
		.amdhsa_float_denorm_mode_32 3
		.amdhsa_float_denorm_mode_16_64 3
		.amdhsa_dx10_clamp 1
		.amdhsa_ieee_mode 1
		.amdhsa_fp16_overflow 0
		.amdhsa_exception_fp_ieee_invalid_op 0
		.amdhsa_exception_fp_denorm_src 0
		.amdhsa_exception_fp_ieee_div_zero 0
		.amdhsa_exception_fp_ieee_overflow 0
		.amdhsa_exception_fp_ieee_underflow 0
		.amdhsa_exception_fp_ieee_inexact 0
		.amdhsa_exception_int_div_zero 0
	.end_amdhsa_kernel
	.section	.text._Z17warp_store_kernelILj256ELj32ELj64ELN6hipcub18WarpStoreAlgorithmE0EiEvPT3_,"axG",@progbits,_Z17warp_store_kernelILj256ELj32ELj64ELN6hipcub18WarpStoreAlgorithmE0EiEvPT3_,comdat
.Lfunc_end49:
	.size	_Z17warp_store_kernelILj256ELj32ELj64ELN6hipcub18WarpStoreAlgorithmE0EiEvPT3_, .Lfunc_end49-_Z17warp_store_kernelILj256ELj32ELj64ELN6hipcub18WarpStoreAlgorithmE0EiEvPT3_
                                        ; -- End function
	.set _Z17warp_store_kernelILj256ELj32ELj64ELN6hipcub18WarpStoreAlgorithmE0EiEvPT3_.num_vgpr, 7
	.set _Z17warp_store_kernelILj256ELj32ELj64ELN6hipcub18WarpStoreAlgorithmE0EiEvPT3_.num_agpr, 0
	.set _Z17warp_store_kernelILj256ELj32ELj64ELN6hipcub18WarpStoreAlgorithmE0EiEvPT3_.numbered_sgpr, 7
	.set _Z17warp_store_kernelILj256ELj32ELj64ELN6hipcub18WarpStoreAlgorithmE0EiEvPT3_.num_named_barrier, 0
	.set _Z17warp_store_kernelILj256ELj32ELj64ELN6hipcub18WarpStoreAlgorithmE0EiEvPT3_.private_seg_size, 0
	.set _Z17warp_store_kernelILj256ELj32ELj64ELN6hipcub18WarpStoreAlgorithmE0EiEvPT3_.uses_vcc, 1
	.set _Z17warp_store_kernelILj256ELj32ELj64ELN6hipcub18WarpStoreAlgorithmE0EiEvPT3_.uses_flat_scratch, 0
	.set _Z17warp_store_kernelILj256ELj32ELj64ELN6hipcub18WarpStoreAlgorithmE0EiEvPT3_.has_dyn_sized_stack, 0
	.set _Z17warp_store_kernelILj256ELj32ELj64ELN6hipcub18WarpStoreAlgorithmE0EiEvPT3_.has_recursion, 0
	.set _Z17warp_store_kernelILj256ELj32ELj64ELN6hipcub18WarpStoreAlgorithmE0EiEvPT3_.has_indirect_call, 0
	.section	.AMDGPU.csdata,"",@progbits
; Kernel info:
; codeLenInByte = 308
; TotalNumSgprs: 11
; NumVgprs: 7
; ScratchSize: 0
; MemoryBound: 1
; FloatMode: 240
; IeeeMode: 1
; LDSByteSize: 0 bytes/workgroup (compile time only)
; SGPRBlocks: 1
; VGPRBlocks: 1
; NumSGPRsForWavesPerEU: 11
; NumVGPRsForWavesPerEU: 7
; Occupancy: 10
; WaveLimiterHint : 1
; COMPUTE_PGM_RSRC2:SCRATCH_EN: 0
; COMPUTE_PGM_RSRC2:USER_SGPR: 6
; COMPUTE_PGM_RSRC2:TRAP_HANDLER: 0
; COMPUTE_PGM_RSRC2:TGID_X_EN: 1
; COMPUTE_PGM_RSRC2:TGID_Y_EN: 0
; COMPUTE_PGM_RSRC2:TGID_Z_EN: 0
; COMPUTE_PGM_RSRC2:TIDIG_COMP_CNT: 0
	.section	.text._Z17warp_store_kernelILj256ELj32ELj64ELN6hipcub18WarpStoreAlgorithmE1EiEvPT3_,"axG",@progbits,_Z17warp_store_kernelILj256ELj32ELj64ELN6hipcub18WarpStoreAlgorithmE1EiEvPT3_,comdat
	.protected	_Z17warp_store_kernelILj256ELj32ELj64ELN6hipcub18WarpStoreAlgorithmE1EiEvPT3_ ; -- Begin function _Z17warp_store_kernelILj256ELj32ELj64ELN6hipcub18WarpStoreAlgorithmE1EiEvPT3_
	.globl	_Z17warp_store_kernelILj256ELj32ELj64ELN6hipcub18WarpStoreAlgorithmE1EiEvPT3_
	.p2align	8
	.type	_Z17warp_store_kernelILj256ELj32ELj64ELN6hipcub18WarpStoreAlgorithmE1EiEvPT3_,@function
_Z17warp_store_kernelILj256ELj32ELj64ELN6hipcub18WarpStoreAlgorithmE1EiEvPT3_: ; @_Z17warp_store_kernelILj256ELj32ELj64ELN6hipcub18WarpStoreAlgorithmE1EiEvPT3_
; %bb.0:
	s_load_dwordx2 s[0:1], s[4:5], 0x0
	v_lshlrev_b32_e32 v0, 5, v0
	v_and_b32_e32 v0, 0x1800, v0
	v_mov_b32_e32 v1, 0
	v_mbcnt_lo_u32_b32 v2, -1, 0
	v_lshl_or_b32 v0, s6, 13, v0
	v_mbcnt_hi_u32_b32 v4, -1, v2
	v_lshlrev_b64 v[2:3], 2, v[0:1]
	s_waitcnt lgkmcnt(0)
	v_mov_b32_e32 v0, s1
	v_add_co_u32_e32 v2, vcc, s0, v2
	v_addc_co_u32_e32 v0, vcc, v0, v3, vcc
	v_lshlrev_b32_e32 v3, 2, v4
	v_add_co_u32_e32 v2, vcc, v2, v3
	v_lshlrev_b32_e32 v3, 7, v4
	v_addc_co_u32_e32 v0, vcc, 0, v0, vcc
	v_and_b32_e32 v3, 0x2000, v3
	v_add_co_u32_e32 v2, vcc, v2, v3
	v_addc_co_u32_e32 v3, vcc, 0, v0, vcc
	v_mov_b32_e32 v0, 1
	v_mov_b32_e32 v7, 2
	global_store_dword v[2:3], v1, off
	global_store_dword v[2:3], v0, off offset:256
	global_store_dword v[2:3], v7, off offset:512
	v_mov_b32_e32 v0, 3
	global_store_dword v[2:3], v0, off offset:768
	v_mov_b32_e32 v0, 4
	v_mov_b32_e32 v5, 5
	global_store_dword v[2:3], v0, off offset:1024
	global_store_dword v[2:3], v5, off offset:1280
	v_mov_b32_e32 v0, 6
	v_mov_b32_e32 v8, 7
	global_store_dword v[2:3], v0, off offset:1536
	global_store_dword v[2:3], v8, off offset:1792
	v_mov_b32_e32 v0, 8
	global_store_dword v[2:3], v0, off offset:2048
	v_mov_b32_e32 v0, 9
	;; [unrolled: 2-line block ×5, first 2 shown]
	v_mov_b32_e32 v6, 13
	global_store_dword v[2:3], v0, off offset:3072
	global_store_dword v[2:3], v6, off offset:3328
	v_mov_b32_e32 v0, 14
	global_store_dword v[2:3], v0, off offset:3584
	v_mov_b32_e32 v0, 15
	s_movk_i32 s0, 0x1000
	global_store_dword v[2:3], v0, off offset:3840
	v_add_co_u32_e32 v0, vcc, s0, v2
	v_addc_co_u32_e32 v1, vcc, 0, v3, vcc
	v_mov_b32_e32 v2, 16
	global_store_dword v[0:1], v2, off
	v_mov_b32_e32 v2, 17
	global_store_dword v[0:1], v2, off offset:256
	v_mov_b32_e32 v2, 18
	global_store_dword v[0:1], v2, off offset:512
	;; [unrolled: 2-line block ×15, first 2 shown]
	s_endpgm
	.section	.rodata,"a",@progbits
	.p2align	6, 0x0
	.amdhsa_kernel _Z17warp_store_kernelILj256ELj32ELj64ELN6hipcub18WarpStoreAlgorithmE1EiEvPT3_
		.amdhsa_group_segment_fixed_size 0
		.amdhsa_private_segment_fixed_size 0
		.amdhsa_kernarg_size 8
		.amdhsa_user_sgpr_count 6
		.amdhsa_user_sgpr_private_segment_buffer 1
		.amdhsa_user_sgpr_dispatch_ptr 0
		.amdhsa_user_sgpr_queue_ptr 0
		.amdhsa_user_sgpr_kernarg_segment_ptr 1
		.amdhsa_user_sgpr_dispatch_id 0
		.amdhsa_user_sgpr_flat_scratch_init 0
		.amdhsa_user_sgpr_private_segment_size 0
		.amdhsa_uses_dynamic_stack 0
		.amdhsa_system_sgpr_private_segment_wavefront_offset 0
		.amdhsa_system_sgpr_workgroup_id_x 1
		.amdhsa_system_sgpr_workgroup_id_y 0
		.amdhsa_system_sgpr_workgroup_id_z 0
		.amdhsa_system_sgpr_workgroup_info 0
		.amdhsa_system_vgpr_workitem_id 0
		.amdhsa_next_free_vgpr 9
		.amdhsa_next_free_sgpr 7
		.amdhsa_reserve_vcc 1
		.amdhsa_reserve_flat_scratch 0
		.amdhsa_float_round_mode_32 0
		.amdhsa_float_round_mode_16_64 0
		.amdhsa_float_denorm_mode_32 3
		.amdhsa_float_denorm_mode_16_64 3
		.amdhsa_dx10_clamp 1
		.amdhsa_ieee_mode 1
		.amdhsa_fp16_overflow 0
		.amdhsa_exception_fp_ieee_invalid_op 0
		.amdhsa_exception_fp_denorm_src 0
		.amdhsa_exception_fp_ieee_div_zero 0
		.amdhsa_exception_fp_ieee_overflow 0
		.amdhsa_exception_fp_ieee_underflow 0
		.amdhsa_exception_fp_ieee_inexact 0
		.amdhsa_exception_int_div_zero 0
	.end_amdhsa_kernel
	.section	.text._Z17warp_store_kernelILj256ELj32ELj64ELN6hipcub18WarpStoreAlgorithmE1EiEvPT3_,"axG",@progbits,_Z17warp_store_kernelILj256ELj32ELj64ELN6hipcub18WarpStoreAlgorithmE1EiEvPT3_,comdat
.Lfunc_end50:
	.size	_Z17warp_store_kernelILj256ELj32ELj64ELN6hipcub18WarpStoreAlgorithmE1EiEvPT3_, .Lfunc_end50-_Z17warp_store_kernelILj256ELj32ELj64ELN6hipcub18WarpStoreAlgorithmE1EiEvPT3_
                                        ; -- End function
	.set _Z17warp_store_kernelILj256ELj32ELj64ELN6hipcub18WarpStoreAlgorithmE1EiEvPT3_.num_vgpr, 9
	.set _Z17warp_store_kernelILj256ELj32ELj64ELN6hipcub18WarpStoreAlgorithmE1EiEvPT3_.num_agpr, 0
	.set _Z17warp_store_kernelILj256ELj32ELj64ELN6hipcub18WarpStoreAlgorithmE1EiEvPT3_.numbered_sgpr, 7
	.set _Z17warp_store_kernelILj256ELj32ELj64ELN6hipcub18WarpStoreAlgorithmE1EiEvPT3_.num_named_barrier, 0
	.set _Z17warp_store_kernelILj256ELj32ELj64ELN6hipcub18WarpStoreAlgorithmE1EiEvPT3_.private_seg_size, 0
	.set _Z17warp_store_kernelILj256ELj32ELj64ELN6hipcub18WarpStoreAlgorithmE1EiEvPT3_.uses_vcc, 1
	.set _Z17warp_store_kernelILj256ELj32ELj64ELN6hipcub18WarpStoreAlgorithmE1EiEvPT3_.uses_flat_scratch, 0
	.set _Z17warp_store_kernelILj256ELj32ELj64ELN6hipcub18WarpStoreAlgorithmE1EiEvPT3_.has_dyn_sized_stack, 0
	.set _Z17warp_store_kernelILj256ELj32ELj64ELN6hipcub18WarpStoreAlgorithmE1EiEvPT3_.has_recursion, 0
	.set _Z17warp_store_kernelILj256ELj32ELj64ELN6hipcub18WarpStoreAlgorithmE1EiEvPT3_.has_indirect_call, 0
	.section	.AMDGPU.csdata,"",@progbits
; Kernel info:
; codeLenInByte = 500
; TotalNumSgprs: 11
; NumVgprs: 9
; ScratchSize: 0
; MemoryBound: 0
; FloatMode: 240
; IeeeMode: 1
; LDSByteSize: 0 bytes/workgroup (compile time only)
; SGPRBlocks: 1
; VGPRBlocks: 2
; NumSGPRsForWavesPerEU: 11
; NumVGPRsForWavesPerEU: 9
; Occupancy: 10
; WaveLimiterHint : 1
; COMPUTE_PGM_RSRC2:SCRATCH_EN: 0
; COMPUTE_PGM_RSRC2:USER_SGPR: 6
; COMPUTE_PGM_RSRC2:TRAP_HANDLER: 0
; COMPUTE_PGM_RSRC2:TGID_X_EN: 1
; COMPUTE_PGM_RSRC2:TGID_Y_EN: 0
; COMPUTE_PGM_RSRC2:TGID_Z_EN: 0
; COMPUTE_PGM_RSRC2:TIDIG_COMP_CNT: 0
	.section	.text._Z17warp_store_kernelILj256ELj32ELj64ELN6hipcub18WarpStoreAlgorithmE2EiEvPT3_,"axG",@progbits,_Z17warp_store_kernelILj256ELj32ELj64ELN6hipcub18WarpStoreAlgorithmE2EiEvPT3_,comdat
	.protected	_Z17warp_store_kernelILj256ELj32ELj64ELN6hipcub18WarpStoreAlgorithmE2EiEvPT3_ ; -- Begin function _Z17warp_store_kernelILj256ELj32ELj64ELN6hipcub18WarpStoreAlgorithmE2EiEvPT3_
	.globl	_Z17warp_store_kernelILj256ELj32ELj64ELN6hipcub18WarpStoreAlgorithmE2EiEvPT3_
	.p2align	8
	.type	_Z17warp_store_kernelILj256ELj32ELj64ELN6hipcub18WarpStoreAlgorithmE2EiEvPT3_,@function
_Z17warp_store_kernelILj256ELj32ELj64ELN6hipcub18WarpStoreAlgorithmE2EiEvPT3_: ; @_Z17warp_store_kernelILj256ELj32ELj64ELN6hipcub18WarpStoreAlgorithmE2EiEvPT3_
; %bb.0:
	s_load_dwordx2 s[0:1], s[4:5], 0x0
	v_lshlrev_b32_e32 v0, 5, v0
	v_and_b32_e32 v0, 0x1800, v0
	v_mbcnt_lo_u32_b32 v1, -1, 0
	v_lshl_or_b32 v3, s6, 13, v0
	v_mov_b32_e32 v4, 0
	v_mbcnt_hi_u32_b32 v2, -1, v1
	v_lshlrev_b64 v[0:1], 2, v[3:4]
	s_waitcnt lgkmcnt(0)
	v_mov_b32_e32 v3, s1
	v_add_co_u32_e32 v0, vcc, s0, v0
	v_addc_co_u32_e32 v1, vcc, v3, v1, vcc
	v_lshlrev_b32_e32 v2, 7, v2
	v_add_co_u32_e32 v5, vcc, v0, v2
	v_addc_co_u32_e32 v6, vcc, 0, v1, vcc
	v_mov_b32_e32 v1, 1
	v_mov_b32_e32 v2, 2
	;; [unrolled: 1-line block ×4, first 2 shown]
	global_store_dwordx4 v[5:6], v[0:3], off
	s_nop 0
	v_mov_b32_e32 v0, 4
	v_mov_b32_e32 v1, 5
	v_mov_b32_e32 v2, 6
	v_mov_b32_e32 v3, 7
	global_store_dwordx4 v[5:6], v[0:3], off offset:16
	s_nop 0
	v_mov_b32_e32 v0, 8
	v_mov_b32_e32 v1, 9
	v_mov_b32_e32 v2, 10
	v_mov_b32_e32 v3, 11
	global_store_dwordx4 v[5:6], v[0:3], off offset:32
	;; [unrolled: 6-line block ×7, first 2 shown]
	s_endpgm
	.section	.rodata,"a",@progbits
	.p2align	6, 0x0
	.amdhsa_kernel _Z17warp_store_kernelILj256ELj32ELj64ELN6hipcub18WarpStoreAlgorithmE2EiEvPT3_
		.amdhsa_group_segment_fixed_size 0
		.amdhsa_private_segment_fixed_size 0
		.amdhsa_kernarg_size 8
		.amdhsa_user_sgpr_count 6
		.amdhsa_user_sgpr_private_segment_buffer 1
		.amdhsa_user_sgpr_dispatch_ptr 0
		.amdhsa_user_sgpr_queue_ptr 0
		.amdhsa_user_sgpr_kernarg_segment_ptr 1
		.amdhsa_user_sgpr_dispatch_id 0
		.amdhsa_user_sgpr_flat_scratch_init 0
		.amdhsa_user_sgpr_private_segment_size 0
		.amdhsa_uses_dynamic_stack 0
		.amdhsa_system_sgpr_private_segment_wavefront_offset 0
		.amdhsa_system_sgpr_workgroup_id_x 1
		.amdhsa_system_sgpr_workgroup_id_y 0
		.amdhsa_system_sgpr_workgroup_id_z 0
		.amdhsa_system_sgpr_workgroup_info 0
		.amdhsa_system_vgpr_workitem_id 0
		.amdhsa_next_free_vgpr 7
		.amdhsa_next_free_sgpr 7
		.amdhsa_reserve_vcc 1
		.amdhsa_reserve_flat_scratch 0
		.amdhsa_float_round_mode_32 0
		.amdhsa_float_round_mode_16_64 0
		.amdhsa_float_denorm_mode_32 3
		.amdhsa_float_denorm_mode_16_64 3
		.amdhsa_dx10_clamp 1
		.amdhsa_ieee_mode 1
		.amdhsa_fp16_overflow 0
		.amdhsa_exception_fp_ieee_invalid_op 0
		.amdhsa_exception_fp_denorm_src 0
		.amdhsa_exception_fp_ieee_div_zero 0
		.amdhsa_exception_fp_ieee_overflow 0
		.amdhsa_exception_fp_ieee_underflow 0
		.amdhsa_exception_fp_ieee_inexact 0
		.amdhsa_exception_int_div_zero 0
	.end_amdhsa_kernel
	.section	.text._Z17warp_store_kernelILj256ELj32ELj64ELN6hipcub18WarpStoreAlgorithmE2EiEvPT3_,"axG",@progbits,_Z17warp_store_kernelILj256ELj32ELj64ELN6hipcub18WarpStoreAlgorithmE2EiEvPT3_,comdat
.Lfunc_end51:
	.size	_Z17warp_store_kernelILj256ELj32ELj64ELN6hipcub18WarpStoreAlgorithmE2EiEvPT3_, .Lfunc_end51-_Z17warp_store_kernelILj256ELj32ELj64ELN6hipcub18WarpStoreAlgorithmE2EiEvPT3_
                                        ; -- End function
	.set _Z17warp_store_kernelILj256ELj32ELj64ELN6hipcub18WarpStoreAlgorithmE2EiEvPT3_.num_vgpr, 7
	.set _Z17warp_store_kernelILj256ELj32ELj64ELN6hipcub18WarpStoreAlgorithmE2EiEvPT3_.num_agpr, 0
	.set _Z17warp_store_kernelILj256ELj32ELj64ELN6hipcub18WarpStoreAlgorithmE2EiEvPT3_.numbered_sgpr, 7
	.set _Z17warp_store_kernelILj256ELj32ELj64ELN6hipcub18WarpStoreAlgorithmE2EiEvPT3_.num_named_barrier, 0
	.set _Z17warp_store_kernelILj256ELj32ELj64ELN6hipcub18WarpStoreAlgorithmE2EiEvPT3_.private_seg_size, 0
	.set _Z17warp_store_kernelILj256ELj32ELj64ELN6hipcub18WarpStoreAlgorithmE2EiEvPT3_.uses_vcc, 1
	.set _Z17warp_store_kernelILj256ELj32ELj64ELN6hipcub18WarpStoreAlgorithmE2EiEvPT3_.uses_flat_scratch, 0
	.set _Z17warp_store_kernelILj256ELj32ELj64ELN6hipcub18WarpStoreAlgorithmE2EiEvPT3_.has_dyn_sized_stack, 0
	.set _Z17warp_store_kernelILj256ELj32ELj64ELN6hipcub18WarpStoreAlgorithmE2EiEvPT3_.has_recursion, 0
	.set _Z17warp_store_kernelILj256ELj32ELj64ELN6hipcub18WarpStoreAlgorithmE2EiEvPT3_.has_indirect_call, 0
	.section	.AMDGPU.csdata,"",@progbits
; Kernel info:
; codeLenInByte = 308
; TotalNumSgprs: 11
; NumVgprs: 7
; ScratchSize: 0
; MemoryBound: 1
; FloatMode: 240
; IeeeMode: 1
; LDSByteSize: 0 bytes/workgroup (compile time only)
; SGPRBlocks: 1
; VGPRBlocks: 1
; NumSGPRsForWavesPerEU: 11
; NumVGPRsForWavesPerEU: 7
; Occupancy: 10
; WaveLimiterHint : 1
; COMPUTE_PGM_RSRC2:SCRATCH_EN: 0
; COMPUTE_PGM_RSRC2:USER_SGPR: 6
; COMPUTE_PGM_RSRC2:TRAP_HANDLER: 0
; COMPUTE_PGM_RSRC2:TGID_X_EN: 1
; COMPUTE_PGM_RSRC2:TGID_Y_EN: 0
; COMPUTE_PGM_RSRC2:TGID_Z_EN: 0
; COMPUTE_PGM_RSRC2:TIDIG_COMP_CNT: 0
	.section	.text._Z17warp_store_kernelILj256ELj32ELj64ELN6hipcub18WarpStoreAlgorithmE3EiEvPT3_,"axG",@progbits,_Z17warp_store_kernelILj256ELj32ELj64ELN6hipcub18WarpStoreAlgorithmE3EiEvPT3_,comdat
	.protected	_Z17warp_store_kernelILj256ELj32ELj64ELN6hipcub18WarpStoreAlgorithmE3EiEvPT3_ ; -- Begin function _Z17warp_store_kernelILj256ELj32ELj64ELN6hipcub18WarpStoreAlgorithmE3EiEvPT3_
	.globl	_Z17warp_store_kernelILj256ELj32ELj64ELN6hipcub18WarpStoreAlgorithmE3EiEvPT3_
	.p2align	8
	.type	_Z17warp_store_kernelILj256ELj32ELj64ELN6hipcub18WarpStoreAlgorithmE3EiEvPT3_,@function
_Z17warp_store_kernelILj256ELj32ELj64ELN6hipcub18WarpStoreAlgorithmE3EiEvPT3_: ; @_Z17warp_store_kernelILj256ELj32ELj64ELN6hipcub18WarpStoreAlgorithmE3EiEvPT3_
; %bb.0:
	s_load_dwordx2 s[0:1], s[4:5], 0x0
	v_lshrrev_b32_e32 v0, 6, v0
	s_lshl_b32 s2, s6, 13
	v_mbcnt_lo_u32_b32 v1, -1, 0
	v_lshl_or_b32 v3, v0, 11, s2
	v_mov_b32_e32 v4, 0
	v_lshlrev_b32_e32 v5, 13, v0
	v_mbcnt_hi_u32_b32 v6, -1, v1
	v_lshlrev_b64 v[0:1], 2, v[3:4]
	s_waitcnt lgkmcnt(0)
	v_mov_b32_e32 v2, s1
	v_add_co_u32_e32 v32, vcc, s0, v0
	v_lshlrev_b32_e32 v34, 7, v6
	v_addc_co_u32_e32 v33, vcc, v2, v1, vcc
	v_add_u32_e32 v7, v5, v34
	v_mov_b32_e32 v1, 1
	v_mov_b32_e32 v2, 2
	;; [unrolled: 1-line block ×4, first 2 shown]
	ds_write_b128 v7, v[0:3]
	v_mov_b32_e32 v0, 4
	v_mov_b32_e32 v1, 5
	v_mov_b32_e32 v2, 6
	v_mov_b32_e32 v3, 7
	ds_write_b128 v7, v[0:3] offset:16
	v_mov_b32_e32 v0, 8
	v_mov_b32_e32 v1, 9
	v_mov_b32_e32 v2, 10
	v_mov_b32_e32 v3, 11
	ds_write_b128 v7, v[0:3] offset:32
	;; [unrolled: 5-line block ×5, first 2 shown]
	v_mov_b32_e32 v0, 24
	v_mov_b32_e32 v1, 25
	;; [unrolled: 1-line block ×4, first 2 shown]
	v_lshlrev_b32_e32 v35, 2, v6
	ds_write_b128 v7, v[0:3] offset:96
	v_mov_b32_e32 v0, 28
	v_mov_b32_e32 v1, 29
	;; [unrolled: 1-line block ×4, first 2 shown]
	v_or_b32_e32 v30, v5, v35
	v_add_co_u32_e32 v32, vcc, v32, v35
	ds_write_b128 v7, v[0:3] offset:112
	; wave barrier
	ds_read2st64_b32 v[0:1], v30 offset1:1
	ds_read2st64_b32 v[2:3], v30 offset0:2 offset1:3
	ds_read2st64_b32 v[4:5], v30 offset0:4 offset1:5
	;; [unrolled: 1-line block ×15, first 2 shown]
	v_addc_co_u32_e32 v33, vcc, 0, v33, vcc
	v_and_b32_e32 v34, 0x2000, v34
	v_add_co_u32_e32 v32, vcc, v32, v34
	v_addc_co_u32_e32 v33, vcc, 0, v33, vcc
	s_movk_i32 s0, 0x1000
	s_waitcnt lgkmcnt(14)
	global_store_dword v[32:33], v0, off
	global_store_dword v[32:33], v1, off offset:256
	global_store_dword v[32:33], v2, off offset:512
	;; [unrolled: 1-line block ×3, first 2 shown]
	s_waitcnt lgkmcnt(13)
	global_store_dword v[32:33], v4, off offset:1024
	global_store_dword v[32:33], v5, off offset:1280
	s_waitcnt lgkmcnt(12)
	global_store_dword v[32:33], v6, off offset:1536
	global_store_dword v[32:33], v7, off offset:1792
	;; [unrolled: 3-line block ×6, first 2 shown]
	v_add_co_u32_e32 v0, vcc, s0, v32
	v_addc_co_u32_e32 v1, vcc, 0, v33, vcc
	s_waitcnt lgkmcnt(7)
	global_store_dword v[0:1], v16, off
	global_store_dword v[0:1], v17, off offset:256
	s_waitcnt lgkmcnt(6)
	global_store_dword v[0:1], v18, off offset:512
	global_store_dword v[0:1], v19, off offset:768
	s_waitcnt lgkmcnt(5)
	global_store_dword v[0:1], v20, off offset:1024
	;; [unrolled: 3-line block ×7, first 2 shown]
	global_store_dword v[0:1], v31, off offset:3840
	s_endpgm
	.section	.rodata,"a",@progbits
	.p2align	6, 0x0
	.amdhsa_kernel _Z17warp_store_kernelILj256ELj32ELj64ELN6hipcub18WarpStoreAlgorithmE3EiEvPT3_
		.amdhsa_group_segment_fixed_size 32768
		.amdhsa_private_segment_fixed_size 0
		.amdhsa_kernarg_size 8
		.amdhsa_user_sgpr_count 6
		.amdhsa_user_sgpr_private_segment_buffer 1
		.amdhsa_user_sgpr_dispatch_ptr 0
		.amdhsa_user_sgpr_queue_ptr 0
		.amdhsa_user_sgpr_kernarg_segment_ptr 1
		.amdhsa_user_sgpr_dispatch_id 0
		.amdhsa_user_sgpr_flat_scratch_init 0
		.amdhsa_user_sgpr_private_segment_size 0
		.amdhsa_uses_dynamic_stack 0
		.amdhsa_system_sgpr_private_segment_wavefront_offset 0
		.amdhsa_system_sgpr_workgroup_id_x 1
		.amdhsa_system_sgpr_workgroup_id_y 0
		.amdhsa_system_sgpr_workgroup_id_z 0
		.amdhsa_system_sgpr_workgroup_info 0
		.amdhsa_system_vgpr_workitem_id 0
		.amdhsa_next_free_vgpr 85
		.amdhsa_next_free_sgpr 98
		.amdhsa_reserve_vcc 1
		.amdhsa_reserve_flat_scratch 0
		.amdhsa_float_round_mode_32 0
		.amdhsa_float_round_mode_16_64 0
		.amdhsa_float_denorm_mode_32 3
		.amdhsa_float_denorm_mode_16_64 3
		.amdhsa_dx10_clamp 1
		.amdhsa_ieee_mode 1
		.amdhsa_fp16_overflow 0
		.amdhsa_exception_fp_ieee_invalid_op 0
		.amdhsa_exception_fp_denorm_src 0
		.amdhsa_exception_fp_ieee_div_zero 0
		.amdhsa_exception_fp_ieee_overflow 0
		.amdhsa_exception_fp_ieee_underflow 0
		.amdhsa_exception_fp_ieee_inexact 0
		.amdhsa_exception_int_div_zero 0
	.end_amdhsa_kernel
	.section	.text._Z17warp_store_kernelILj256ELj32ELj64ELN6hipcub18WarpStoreAlgorithmE3EiEvPT3_,"axG",@progbits,_Z17warp_store_kernelILj256ELj32ELj64ELN6hipcub18WarpStoreAlgorithmE3EiEvPT3_,comdat
.Lfunc_end52:
	.size	_Z17warp_store_kernelILj256ELj32ELj64ELN6hipcub18WarpStoreAlgorithmE3EiEvPT3_, .Lfunc_end52-_Z17warp_store_kernelILj256ELj32ELj64ELN6hipcub18WarpStoreAlgorithmE3EiEvPT3_
                                        ; -- End function
	.set _Z17warp_store_kernelILj256ELj32ELj64ELN6hipcub18WarpStoreAlgorithmE3EiEvPT3_.num_vgpr, 36
	.set _Z17warp_store_kernelILj256ELj32ELj64ELN6hipcub18WarpStoreAlgorithmE3EiEvPT3_.num_agpr, 0
	.set _Z17warp_store_kernelILj256ELj32ELj64ELN6hipcub18WarpStoreAlgorithmE3EiEvPT3_.numbered_sgpr, 7
	.set _Z17warp_store_kernelILj256ELj32ELj64ELN6hipcub18WarpStoreAlgorithmE3EiEvPT3_.num_named_barrier, 0
	.set _Z17warp_store_kernelILj256ELj32ELj64ELN6hipcub18WarpStoreAlgorithmE3EiEvPT3_.private_seg_size, 0
	.set _Z17warp_store_kernelILj256ELj32ELj64ELN6hipcub18WarpStoreAlgorithmE3EiEvPT3_.uses_vcc, 1
	.set _Z17warp_store_kernelILj256ELj32ELj64ELN6hipcub18WarpStoreAlgorithmE3EiEvPT3_.uses_flat_scratch, 0
	.set _Z17warp_store_kernelILj256ELj32ELj64ELN6hipcub18WarpStoreAlgorithmE3EiEvPT3_.has_dyn_sized_stack, 0
	.set _Z17warp_store_kernelILj256ELj32ELj64ELN6hipcub18WarpStoreAlgorithmE3EiEvPT3_.has_recursion, 0
	.set _Z17warp_store_kernelILj256ELj32ELj64ELN6hipcub18WarpStoreAlgorithmE3EiEvPT3_.has_indirect_call, 0
	.section	.AMDGPU.csdata,"",@progbits
; Kernel info:
; codeLenInByte = 764
; TotalNumSgprs: 11
; NumVgprs: 36
; ScratchSize: 0
; MemoryBound: 1
; FloatMode: 240
; IeeeMode: 1
; LDSByteSize: 32768 bytes/workgroup (compile time only)
; SGPRBlocks: 12
; VGPRBlocks: 21
; NumSGPRsForWavesPerEU: 102
; NumVGPRsForWavesPerEU: 85
; Occupancy: 2
; WaveLimiterHint : 1
; COMPUTE_PGM_RSRC2:SCRATCH_EN: 0
; COMPUTE_PGM_RSRC2:USER_SGPR: 6
; COMPUTE_PGM_RSRC2:TRAP_HANDLER: 0
; COMPUTE_PGM_RSRC2:TGID_X_EN: 1
; COMPUTE_PGM_RSRC2:TGID_Y_EN: 0
; COMPUTE_PGM_RSRC2:TGID_Z_EN: 0
; COMPUTE_PGM_RSRC2:TIDIG_COMP_CNT: 0
	.section	.text._Z17warp_store_kernelILj256ELj64ELj64ELN6hipcub18WarpStoreAlgorithmE0EiEvPT3_,"axG",@progbits,_Z17warp_store_kernelILj256ELj64ELj64ELN6hipcub18WarpStoreAlgorithmE0EiEvPT3_,comdat
	.protected	_Z17warp_store_kernelILj256ELj64ELj64ELN6hipcub18WarpStoreAlgorithmE0EiEvPT3_ ; -- Begin function _Z17warp_store_kernelILj256ELj64ELj64ELN6hipcub18WarpStoreAlgorithmE0EiEvPT3_
	.globl	_Z17warp_store_kernelILj256ELj64ELj64ELN6hipcub18WarpStoreAlgorithmE0EiEvPT3_
	.p2align	8
	.type	_Z17warp_store_kernelILj256ELj64ELj64ELN6hipcub18WarpStoreAlgorithmE0EiEvPT3_,@function
_Z17warp_store_kernelILj256ELj64ELj64ELN6hipcub18WarpStoreAlgorithmE0EiEvPT3_: ; @_Z17warp_store_kernelILj256ELj64ELj64ELN6hipcub18WarpStoreAlgorithmE0EiEvPT3_
; %bb.0:
	s_load_dwordx2 s[0:1], s[4:5], 0x0
	v_lshlrev_b32_e32 v0, 6, v0
	v_and_b32_e32 v0, 0x3000, v0
	v_mbcnt_lo_u32_b32 v1, -1, 0
	v_lshl_or_b32 v3, s6, 14, v0
	v_mov_b32_e32 v4, 0
	v_mbcnt_hi_u32_b32 v2, -1, v1
	v_lshlrev_b64 v[0:1], 2, v[3:4]
	s_waitcnt lgkmcnt(0)
	v_mov_b32_e32 v3, s1
	v_add_co_u32_e32 v0, vcc, s0, v0
	v_addc_co_u32_e32 v1, vcc, v3, v1, vcc
	v_lshlrev_b32_e32 v2, 8, v2
	v_add_co_u32_e32 v5, vcc, v0, v2
	v_addc_co_u32_e32 v6, vcc, 0, v1, vcc
	v_mov_b32_e32 v1, 1
	v_mov_b32_e32 v2, 2
	;; [unrolled: 1-line block ×4, first 2 shown]
	global_store_dwordx4 v[5:6], v[0:3], off
	s_nop 0
	v_mov_b32_e32 v0, 4
	v_mov_b32_e32 v1, 5
	v_mov_b32_e32 v2, 6
	v_mov_b32_e32 v3, 7
	global_store_dwordx4 v[5:6], v[0:3], off offset:16
	s_nop 0
	v_mov_b32_e32 v0, 8
	v_mov_b32_e32 v1, 9
	v_mov_b32_e32 v2, 10
	v_mov_b32_e32 v3, 11
	global_store_dwordx4 v[5:6], v[0:3], off offset:32
	;; [unrolled: 6-line block ×15, first 2 shown]
	s_endpgm
	.section	.rodata,"a",@progbits
	.p2align	6, 0x0
	.amdhsa_kernel _Z17warp_store_kernelILj256ELj64ELj64ELN6hipcub18WarpStoreAlgorithmE0EiEvPT3_
		.amdhsa_group_segment_fixed_size 0
		.amdhsa_private_segment_fixed_size 0
		.amdhsa_kernarg_size 8
		.amdhsa_user_sgpr_count 6
		.amdhsa_user_sgpr_private_segment_buffer 1
		.amdhsa_user_sgpr_dispatch_ptr 0
		.amdhsa_user_sgpr_queue_ptr 0
		.amdhsa_user_sgpr_kernarg_segment_ptr 1
		.amdhsa_user_sgpr_dispatch_id 0
		.amdhsa_user_sgpr_flat_scratch_init 0
		.amdhsa_user_sgpr_private_segment_size 0
		.amdhsa_uses_dynamic_stack 0
		.amdhsa_system_sgpr_private_segment_wavefront_offset 0
		.amdhsa_system_sgpr_workgroup_id_x 1
		.amdhsa_system_sgpr_workgroup_id_y 0
		.amdhsa_system_sgpr_workgroup_id_z 0
		.amdhsa_system_sgpr_workgroup_info 0
		.amdhsa_system_vgpr_workitem_id 0
		.amdhsa_next_free_vgpr 7
		.amdhsa_next_free_sgpr 7
		.amdhsa_reserve_vcc 1
		.amdhsa_reserve_flat_scratch 0
		.amdhsa_float_round_mode_32 0
		.amdhsa_float_round_mode_16_64 0
		.amdhsa_float_denorm_mode_32 3
		.amdhsa_float_denorm_mode_16_64 3
		.amdhsa_dx10_clamp 1
		.amdhsa_ieee_mode 1
		.amdhsa_fp16_overflow 0
		.amdhsa_exception_fp_ieee_invalid_op 0
		.amdhsa_exception_fp_denorm_src 0
		.amdhsa_exception_fp_ieee_div_zero 0
		.amdhsa_exception_fp_ieee_overflow 0
		.amdhsa_exception_fp_ieee_underflow 0
		.amdhsa_exception_fp_ieee_inexact 0
		.amdhsa_exception_int_div_zero 0
	.end_amdhsa_kernel
	.section	.text._Z17warp_store_kernelILj256ELj64ELj64ELN6hipcub18WarpStoreAlgorithmE0EiEvPT3_,"axG",@progbits,_Z17warp_store_kernelILj256ELj64ELj64ELN6hipcub18WarpStoreAlgorithmE0EiEvPT3_,comdat
.Lfunc_end53:
	.size	_Z17warp_store_kernelILj256ELj64ELj64ELN6hipcub18WarpStoreAlgorithmE0EiEvPT3_, .Lfunc_end53-_Z17warp_store_kernelILj256ELj64ELj64ELN6hipcub18WarpStoreAlgorithmE0EiEvPT3_
                                        ; -- End function
	.set _Z17warp_store_kernelILj256ELj64ELj64ELN6hipcub18WarpStoreAlgorithmE0EiEvPT3_.num_vgpr, 7
	.set _Z17warp_store_kernelILj256ELj64ELj64ELN6hipcub18WarpStoreAlgorithmE0EiEvPT3_.num_agpr, 0
	.set _Z17warp_store_kernelILj256ELj64ELj64ELN6hipcub18WarpStoreAlgorithmE0EiEvPT3_.numbered_sgpr, 7
	.set _Z17warp_store_kernelILj256ELj64ELj64ELN6hipcub18WarpStoreAlgorithmE0EiEvPT3_.num_named_barrier, 0
	.set _Z17warp_store_kernelILj256ELj64ELj64ELN6hipcub18WarpStoreAlgorithmE0EiEvPT3_.private_seg_size, 0
	.set _Z17warp_store_kernelILj256ELj64ELj64ELN6hipcub18WarpStoreAlgorithmE0EiEvPT3_.uses_vcc, 1
	.set _Z17warp_store_kernelILj256ELj64ELj64ELN6hipcub18WarpStoreAlgorithmE0EiEvPT3_.uses_flat_scratch, 0
	.set _Z17warp_store_kernelILj256ELj64ELj64ELN6hipcub18WarpStoreAlgorithmE0EiEvPT3_.has_dyn_sized_stack, 0
	.set _Z17warp_store_kernelILj256ELj64ELj64ELN6hipcub18WarpStoreAlgorithmE0EiEvPT3_.has_recursion, 0
	.set _Z17warp_store_kernelILj256ELj64ELj64ELN6hipcub18WarpStoreAlgorithmE0EiEvPT3_.has_indirect_call, 0
	.section	.AMDGPU.csdata,"",@progbits
; Kernel info:
; codeLenInByte = 532
; TotalNumSgprs: 11
; NumVgprs: 7
; ScratchSize: 0
; MemoryBound: 1
; FloatMode: 240
; IeeeMode: 1
; LDSByteSize: 0 bytes/workgroup (compile time only)
; SGPRBlocks: 1
; VGPRBlocks: 1
; NumSGPRsForWavesPerEU: 11
; NumVGPRsForWavesPerEU: 7
; Occupancy: 10
; WaveLimiterHint : 1
; COMPUTE_PGM_RSRC2:SCRATCH_EN: 0
; COMPUTE_PGM_RSRC2:USER_SGPR: 6
; COMPUTE_PGM_RSRC2:TRAP_HANDLER: 0
; COMPUTE_PGM_RSRC2:TGID_X_EN: 1
; COMPUTE_PGM_RSRC2:TGID_Y_EN: 0
; COMPUTE_PGM_RSRC2:TGID_Z_EN: 0
; COMPUTE_PGM_RSRC2:TIDIG_COMP_CNT: 0
	.section	.text._Z17warp_store_kernelILj256ELj64ELj64ELN6hipcub18WarpStoreAlgorithmE1EiEvPT3_,"axG",@progbits,_Z17warp_store_kernelILj256ELj64ELj64ELN6hipcub18WarpStoreAlgorithmE1EiEvPT3_,comdat
	.protected	_Z17warp_store_kernelILj256ELj64ELj64ELN6hipcub18WarpStoreAlgorithmE1EiEvPT3_ ; -- Begin function _Z17warp_store_kernelILj256ELj64ELj64ELN6hipcub18WarpStoreAlgorithmE1EiEvPT3_
	.globl	_Z17warp_store_kernelILj256ELj64ELj64ELN6hipcub18WarpStoreAlgorithmE1EiEvPT3_
	.p2align	8
	.type	_Z17warp_store_kernelILj256ELj64ELj64ELN6hipcub18WarpStoreAlgorithmE1EiEvPT3_,@function
_Z17warp_store_kernelILj256ELj64ELj64ELN6hipcub18WarpStoreAlgorithmE1EiEvPT3_: ; @_Z17warp_store_kernelILj256ELj64ELj64ELN6hipcub18WarpStoreAlgorithmE1EiEvPT3_
; %bb.0:
	s_load_dwordx2 s[0:1], s[4:5], 0x0
	v_lshlrev_b32_e32 v0, 6, v0
	v_and_b32_e32 v0, 0x3000, v0
	v_mov_b32_e32 v1, 0
	v_mbcnt_lo_u32_b32 v2, -1, 0
	v_lshl_or_b32 v0, s6, 14, v0
	v_mbcnt_hi_u32_b32 v4, -1, v2
	v_lshlrev_b64 v[2:3], 2, v[0:1]
	s_waitcnt lgkmcnt(0)
	v_mov_b32_e32 v0, s1
	v_add_co_u32_e32 v2, vcc, s0, v2
	v_addc_co_u32_e32 v0, vcc, v0, v3, vcc
	v_lshlrev_b32_e32 v3, 2, v4
	v_add_co_u32_e32 v2, vcc, v2, v3
	v_lshlrev_b32_e32 v3, 8, v4
	v_addc_co_u32_e32 v0, vcc, 0, v0, vcc
	v_and_b32_e32 v3, 0x4000, v3
	v_add_co_u32_e32 v2, vcc, v2, v3
	v_addc_co_u32_e32 v3, vcc, 0, v0, vcc
	v_mov_b32_e32 v0, 1
	v_mov_b32_e32 v7, 2
	global_store_dword v[2:3], v1, off
	global_store_dword v[2:3], v0, off offset:256
	global_store_dword v[2:3], v7, off offset:512
	v_mov_b32_e32 v0, 3
	global_store_dword v[2:3], v0, off offset:768
	v_mov_b32_e32 v0, 4
	;; [unrolled: 2-line block ×3, first 2 shown]
	v_mov_b32_e32 v5, 6
	global_store_dword v[2:3], v0, off offset:1280
	global_store_dword v[2:3], v5, off offset:1536
	v_mov_b32_e32 v0, 7
	v_mov_b32_e32 v8, 8
	global_store_dword v[2:3], v0, off offset:1792
	global_store_dword v[2:3], v8, off offset:2048
	v_mov_b32_e32 v0, 9
	global_store_dword v[2:3], v0, off offset:2304
	v_mov_b32_e32 v0, 10
	;; [unrolled: 2-line block ×5, first 2 shown]
	v_mov_b32_e32 v6, 14
	global_store_dword v[2:3], v0, off offset:3328
	global_store_dword v[2:3], v6, off offset:3584
	v_mov_b32_e32 v0, 15
	s_movk_i32 s0, 0x1000
	global_store_dword v[2:3], v0, off offset:3840
	v_add_co_u32_e32 v0, vcc, s0, v2
	v_addc_co_u32_e32 v1, vcc, 0, v3, vcc
	s_movk_i32 s0, 0x2000
	v_add_co_u32_e32 v4, vcc, s0, v2
	v_mov_b32_e32 v6, 16
	v_addc_co_u32_e32 v5, vcc, 0, v3, vcc
	global_store_dword v[4:5], v6, off offset:-4096
	v_mov_b32_e32 v6, 17
	global_store_dword v[0:1], v6, off offset:256
	v_mov_b32_e32 v6, 18
	global_store_dword v[0:1], v6, off offset:512
	;; [unrolled: 2-line block ×15, first 2 shown]
	v_mov_b32_e32 v0, 32
	global_store_dword v[4:5], v0, off
	v_mov_b32_e32 v0, 33
	global_store_dword v[4:5], v0, off offset:256
	v_mov_b32_e32 v0, 34
	global_store_dword v[4:5], v0, off offset:512
	;; [unrolled: 2-line block ×13, first 2 shown]
	v_mov_b32_e32 v0, 46
	s_movk_i32 s2, 0x3000
	global_store_dword v[4:5], v0, off offset:3584
	v_mov_b32_e32 v0, 47
	global_store_dword v[4:5], v0, off offset:3840
	v_add_co_u32_e32 v0, vcc, s2, v2
	v_addc_co_u32_e32 v1, vcc, 0, v3, vcc
	v_mov_b32_e32 v2, 48
	global_store_dword v[0:1], v2, off
	v_mov_b32_e32 v2, 49
	global_store_dword v[0:1], v2, off offset:256
	v_mov_b32_e32 v2, 50
	global_store_dword v[0:1], v2, off offset:512
	v_mov_b32_e32 v2, 51
	global_store_dword v[0:1], v2, off offset:768
	v_mov_b32_e32 v2, 52
	global_store_dword v[0:1], v2, off offset:1024
	v_mov_b32_e32 v2, 53
	global_store_dword v[0:1], v2, off offset:1280
	v_mov_b32_e32 v2, 54
	global_store_dword v[0:1], v2, off offset:1536
	v_mov_b32_e32 v2, 55
	global_store_dword v[0:1], v2, off offset:1792
	v_mov_b32_e32 v2, 56
	global_store_dword v[0:1], v2, off offset:2048
	v_mov_b32_e32 v2, 57
	global_store_dword v[0:1], v2, off offset:2304
	v_mov_b32_e32 v2, 58
	global_store_dword v[0:1], v2, off offset:2560
	v_mov_b32_e32 v2, 59
	global_store_dword v[0:1], v2, off offset:2816
	v_mov_b32_e32 v2, 60
	global_store_dword v[0:1], v2, off offset:3072
	v_mov_b32_e32 v2, 61
	global_store_dword v[0:1], v2, off offset:3328
	v_mov_b32_e32 v2, 62
	global_store_dword v[0:1], v2, off offset:3584
	v_mov_b32_e32 v2, 63
	global_store_dword v[0:1], v2, off offset:3840
	s_endpgm
	.section	.rodata,"a",@progbits
	.p2align	6, 0x0
	.amdhsa_kernel _Z17warp_store_kernelILj256ELj64ELj64ELN6hipcub18WarpStoreAlgorithmE1EiEvPT3_
		.amdhsa_group_segment_fixed_size 0
		.amdhsa_private_segment_fixed_size 0
		.amdhsa_kernarg_size 8
		.amdhsa_user_sgpr_count 6
		.amdhsa_user_sgpr_private_segment_buffer 1
		.amdhsa_user_sgpr_dispatch_ptr 0
		.amdhsa_user_sgpr_queue_ptr 0
		.amdhsa_user_sgpr_kernarg_segment_ptr 1
		.amdhsa_user_sgpr_dispatch_id 0
		.amdhsa_user_sgpr_flat_scratch_init 0
		.amdhsa_user_sgpr_private_segment_size 0
		.amdhsa_uses_dynamic_stack 0
		.amdhsa_system_sgpr_private_segment_wavefront_offset 0
		.amdhsa_system_sgpr_workgroup_id_x 1
		.amdhsa_system_sgpr_workgroup_id_y 0
		.amdhsa_system_sgpr_workgroup_id_z 0
		.amdhsa_system_sgpr_workgroup_info 0
		.amdhsa_system_vgpr_workitem_id 0
		.amdhsa_next_free_vgpr 9
		.amdhsa_next_free_sgpr 7
		.amdhsa_reserve_vcc 1
		.amdhsa_reserve_flat_scratch 0
		.amdhsa_float_round_mode_32 0
		.amdhsa_float_round_mode_16_64 0
		.amdhsa_float_denorm_mode_32 3
		.amdhsa_float_denorm_mode_16_64 3
		.amdhsa_dx10_clamp 1
		.amdhsa_ieee_mode 1
		.amdhsa_fp16_overflow 0
		.amdhsa_exception_fp_ieee_invalid_op 0
		.amdhsa_exception_fp_denorm_src 0
		.amdhsa_exception_fp_ieee_div_zero 0
		.amdhsa_exception_fp_ieee_overflow 0
		.amdhsa_exception_fp_ieee_underflow 0
		.amdhsa_exception_fp_ieee_inexact 0
		.amdhsa_exception_int_div_zero 0
	.end_amdhsa_kernel
	.section	.text._Z17warp_store_kernelILj256ELj64ELj64ELN6hipcub18WarpStoreAlgorithmE1EiEvPT3_,"axG",@progbits,_Z17warp_store_kernelILj256ELj64ELj64ELN6hipcub18WarpStoreAlgorithmE1EiEvPT3_,comdat
.Lfunc_end54:
	.size	_Z17warp_store_kernelILj256ELj64ELj64ELN6hipcub18WarpStoreAlgorithmE1EiEvPT3_, .Lfunc_end54-_Z17warp_store_kernelILj256ELj64ELj64ELN6hipcub18WarpStoreAlgorithmE1EiEvPT3_
                                        ; -- End function
	.set _Z17warp_store_kernelILj256ELj64ELj64ELN6hipcub18WarpStoreAlgorithmE1EiEvPT3_.num_vgpr, 9
	.set _Z17warp_store_kernelILj256ELj64ELj64ELN6hipcub18WarpStoreAlgorithmE1EiEvPT3_.num_agpr, 0
	.set _Z17warp_store_kernelILj256ELj64ELj64ELN6hipcub18WarpStoreAlgorithmE1EiEvPT3_.numbered_sgpr, 7
	.set _Z17warp_store_kernelILj256ELj64ELj64ELN6hipcub18WarpStoreAlgorithmE1EiEvPT3_.num_named_barrier, 0
	.set _Z17warp_store_kernelILj256ELj64ELj64ELN6hipcub18WarpStoreAlgorithmE1EiEvPT3_.private_seg_size, 0
	.set _Z17warp_store_kernelILj256ELj64ELj64ELN6hipcub18WarpStoreAlgorithmE1EiEvPT3_.uses_vcc, 1
	.set _Z17warp_store_kernelILj256ELj64ELj64ELN6hipcub18WarpStoreAlgorithmE1EiEvPT3_.uses_flat_scratch, 0
	.set _Z17warp_store_kernelILj256ELj64ELj64ELN6hipcub18WarpStoreAlgorithmE1EiEvPT3_.has_dyn_sized_stack, 0
	.set _Z17warp_store_kernelILj256ELj64ELj64ELN6hipcub18WarpStoreAlgorithmE1EiEvPT3_.has_recursion, 0
	.set _Z17warp_store_kernelILj256ELj64ELj64ELN6hipcub18WarpStoreAlgorithmE1EiEvPT3_.has_indirect_call, 0
	.section	.AMDGPU.csdata,"",@progbits
; Kernel info:
; codeLenInByte = 908
; TotalNumSgprs: 11
; NumVgprs: 9
; ScratchSize: 0
; MemoryBound: 0
; FloatMode: 240
; IeeeMode: 1
; LDSByteSize: 0 bytes/workgroup (compile time only)
; SGPRBlocks: 1
; VGPRBlocks: 2
; NumSGPRsForWavesPerEU: 11
; NumVGPRsForWavesPerEU: 9
; Occupancy: 10
; WaveLimiterHint : 1
; COMPUTE_PGM_RSRC2:SCRATCH_EN: 0
; COMPUTE_PGM_RSRC2:USER_SGPR: 6
; COMPUTE_PGM_RSRC2:TRAP_HANDLER: 0
; COMPUTE_PGM_RSRC2:TGID_X_EN: 1
; COMPUTE_PGM_RSRC2:TGID_Y_EN: 0
; COMPUTE_PGM_RSRC2:TGID_Z_EN: 0
; COMPUTE_PGM_RSRC2:TIDIG_COMP_CNT: 0
	.section	.text._Z17warp_store_kernelILj256ELj64ELj64ELN6hipcub18WarpStoreAlgorithmE2EiEvPT3_,"axG",@progbits,_Z17warp_store_kernelILj256ELj64ELj64ELN6hipcub18WarpStoreAlgorithmE2EiEvPT3_,comdat
	.protected	_Z17warp_store_kernelILj256ELj64ELj64ELN6hipcub18WarpStoreAlgorithmE2EiEvPT3_ ; -- Begin function _Z17warp_store_kernelILj256ELj64ELj64ELN6hipcub18WarpStoreAlgorithmE2EiEvPT3_
	.globl	_Z17warp_store_kernelILj256ELj64ELj64ELN6hipcub18WarpStoreAlgorithmE2EiEvPT3_
	.p2align	8
	.type	_Z17warp_store_kernelILj256ELj64ELj64ELN6hipcub18WarpStoreAlgorithmE2EiEvPT3_,@function
_Z17warp_store_kernelILj256ELj64ELj64ELN6hipcub18WarpStoreAlgorithmE2EiEvPT3_: ; @_Z17warp_store_kernelILj256ELj64ELj64ELN6hipcub18WarpStoreAlgorithmE2EiEvPT3_
; %bb.0:
	s_load_dwordx2 s[0:1], s[4:5], 0x0
	v_lshlrev_b32_e32 v0, 6, v0
	v_and_b32_e32 v0, 0x3000, v0
	v_mbcnt_lo_u32_b32 v1, -1, 0
	v_lshl_or_b32 v3, s6, 14, v0
	v_mov_b32_e32 v4, 0
	v_mbcnt_hi_u32_b32 v2, -1, v1
	v_lshlrev_b64 v[0:1], 2, v[3:4]
	s_waitcnt lgkmcnt(0)
	v_mov_b32_e32 v3, s1
	v_add_co_u32_e32 v0, vcc, s0, v0
	v_addc_co_u32_e32 v1, vcc, v3, v1, vcc
	v_lshlrev_b32_e32 v2, 8, v2
	v_add_co_u32_e32 v5, vcc, v0, v2
	v_addc_co_u32_e32 v6, vcc, 0, v1, vcc
	v_mov_b32_e32 v1, 1
	v_mov_b32_e32 v2, 2
	v_mov_b32_e32 v3, 3
	v_mov_b32_e32 v0, v4
	global_store_dwordx4 v[5:6], v[0:3], off
	s_nop 0
	v_mov_b32_e32 v0, 4
	v_mov_b32_e32 v1, 5
	v_mov_b32_e32 v2, 6
	v_mov_b32_e32 v3, 7
	global_store_dwordx4 v[5:6], v[0:3], off offset:16
	s_nop 0
	v_mov_b32_e32 v0, 8
	v_mov_b32_e32 v1, 9
	v_mov_b32_e32 v2, 10
	v_mov_b32_e32 v3, 11
	global_store_dwordx4 v[5:6], v[0:3], off offset:32
	;; [unrolled: 6-line block ×15, first 2 shown]
	s_endpgm
	.section	.rodata,"a",@progbits
	.p2align	6, 0x0
	.amdhsa_kernel _Z17warp_store_kernelILj256ELj64ELj64ELN6hipcub18WarpStoreAlgorithmE2EiEvPT3_
		.amdhsa_group_segment_fixed_size 0
		.amdhsa_private_segment_fixed_size 0
		.amdhsa_kernarg_size 8
		.amdhsa_user_sgpr_count 6
		.amdhsa_user_sgpr_private_segment_buffer 1
		.amdhsa_user_sgpr_dispatch_ptr 0
		.amdhsa_user_sgpr_queue_ptr 0
		.amdhsa_user_sgpr_kernarg_segment_ptr 1
		.amdhsa_user_sgpr_dispatch_id 0
		.amdhsa_user_sgpr_flat_scratch_init 0
		.amdhsa_user_sgpr_private_segment_size 0
		.amdhsa_uses_dynamic_stack 0
		.amdhsa_system_sgpr_private_segment_wavefront_offset 0
		.amdhsa_system_sgpr_workgroup_id_x 1
		.amdhsa_system_sgpr_workgroup_id_y 0
		.amdhsa_system_sgpr_workgroup_id_z 0
		.amdhsa_system_sgpr_workgroup_info 0
		.amdhsa_system_vgpr_workitem_id 0
		.amdhsa_next_free_vgpr 7
		.amdhsa_next_free_sgpr 7
		.amdhsa_reserve_vcc 1
		.amdhsa_reserve_flat_scratch 0
		.amdhsa_float_round_mode_32 0
		.amdhsa_float_round_mode_16_64 0
		.amdhsa_float_denorm_mode_32 3
		.amdhsa_float_denorm_mode_16_64 3
		.amdhsa_dx10_clamp 1
		.amdhsa_ieee_mode 1
		.amdhsa_fp16_overflow 0
		.amdhsa_exception_fp_ieee_invalid_op 0
		.amdhsa_exception_fp_denorm_src 0
		.amdhsa_exception_fp_ieee_div_zero 0
		.amdhsa_exception_fp_ieee_overflow 0
		.amdhsa_exception_fp_ieee_underflow 0
		.amdhsa_exception_fp_ieee_inexact 0
		.amdhsa_exception_int_div_zero 0
	.end_amdhsa_kernel
	.section	.text._Z17warp_store_kernelILj256ELj64ELj64ELN6hipcub18WarpStoreAlgorithmE2EiEvPT3_,"axG",@progbits,_Z17warp_store_kernelILj256ELj64ELj64ELN6hipcub18WarpStoreAlgorithmE2EiEvPT3_,comdat
.Lfunc_end55:
	.size	_Z17warp_store_kernelILj256ELj64ELj64ELN6hipcub18WarpStoreAlgorithmE2EiEvPT3_, .Lfunc_end55-_Z17warp_store_kernelILj256ELj64ELj64ELN6hipcub18WarpStoreAlgorithmE2EiEvPT3_
                                        ; -- End function
	.set _Z17warp_store_kernelILj256ELj64ELj64ELN6hipcub18WarpStoreAlgorithmE2EiEvPT3_.num_vgpr, 7
	.set _Z17warp_store_kernelILj256ELj64ELj64ELN6hipcub18WarpStoreAlgorithmE2EiEvPT3_.num_agpr, 0
	.set _Z17warp_store_kernelILj256ELj64ELj64ELN6hipcub18WarpStoreAlgorithmE2EiEvPT3_.numbered_sgpr, 7
	.set _Z17warp_store_kernelILj256ELj64ELj64ELN6hipcub18WarpStoreAlgorithmE2EiEvPT3_.num_named_barrier, 0
	.set _Z17warp_store_kernelILj256ELj64ELj64ELN6hipcub18WarpStoreAlgorithmE2EiEvPT3_.private_seg_size, 0
	.set _Z17warp_store_kernelILj256ELj64ELj64ELN6hipcub18WarpStoreAlgorithmE2EiEvPT3_.uses_vcc, 1
	.set _Z17warp_store_kernelILj256ELj64ELj64ELN6hipcub18WarpStoreAlgorithmE2EiEvPT3_.uses_flat_scratch, 0
	.set _Z17warp_store_kernelILj256ELj64ELj64ELN6hipcub18WarpStoreAlgorithmE2EiEvPT3_.has_dyn_sized_stack, 0
	.set _Z17warp_store_kernelILj256ELj64ELj64ELN6hipcub18WarpStoreAlgorithmE2EiEvPT3_.has_recursion, 0
	.set _Z17warp_store_kernelILj256ELj64ELj64ELN6hipcub18WarpStoreAlgorithmE2EiEvPT3_.has_indirect_call, 0
	.section	.AMDGPU.csdata,"",@progbits
; Kernel info:
; codeLenInByte = 532
; TotalNumSgprs: 11
; NumVgprs: 7
; ScratchSize: 0
; MemoryBound: 1
; FloatMode: 240
; IeeeMode: 1
; LDSByteSize: 0 bytes/workgroup (compile time only)
; SGPRBlocks: 1
; VGPRBlocks: 1
; NumSGPRsForWavesPerEU: 11
; NumVGPRsForWavesPerEU: 7
; Occupancy: 10
; WaveLimiterHint : 1
; COMPUTE_PGM_RSRC2:SCRATCH_EN: 0
; COMPUTE_PGM_RSRC2:USER_SGPR: 6
; COMPUTE_PGM_RSRC2:TRAP_HANDLER: 0
; COMPUTE_PGM_RSRC2:TGID_X_EN: 1
; COMPUTE_PGM_RSRC2:TGID_Y_EN: 0
; COMPUTE_PGM_RSRC2:TGID_Z_EN: 0
; COMPUTE_PGM_RSRC2:TIDIG_COMP_CNT: 0
	.section	.text._Z17warp_store_kernelILj256ELj4ELj64ELN6hipcub18WarpStoreAlgorithmE0EdEvPT3_,"axG",@progbits,_Z17warp_store_kernelILj256ELj4ELj64ELN6hipcub18WarpStoreAlgorithmE0EdEvPT3_,comdat
	.protected	_Z17warp_store_kernelILj256ELj4ELj64ELN6hipcub18WarpStoreAlgorithmE0EdEvPT3_ ; -- Begin function _Z17warp_store_kernelILj256ELj4ELj64ELN6hipcub18WarpStoreAlgorithmE0EdEvPT3_
	.globl	_Z17warp_store_kernelILj256ELj4ELj64ELN6hipcub18WarpStoreAlgorithmE0EdEvPT3_
	.p2align	8
	.type	_Z17warp_store_kernelILj256ELj4ELj64ELN6hipcub18WarpStoreAlgorithmE0EdEvPT3_,@function
_Z17warp_store_kernelILj256ELj4ELj64ELN6hipcub18WarpStoreAlgorithmE0EdEvPT3_: ; @_Z17warp_store_kernelILj256ELj4ELj64ELN6hipcub18WarpStoreAlgorithmE0EdEvPT3_
; %bb.0:
	s_load_dwordx2 s[0:1], s[4:5], 0x0
	v_lshlrev_b32_e32 v0, 2, v0
	v_mbcnt_lo_u32_b32 v1, -1, 0
	v_and_b32_e32 v0, 0x300, v0
	v_mbcnt_hi_u32_b32 v4, -1, v1
	v_lshl_or_b32 v0, s6, 10, v0
	v_mov_b32_e32 v1, 0
	v_lshlrev_b64 v[2:3], 3, v[0:1]
	s_waitcnt lgkmcnt(0)
	v_mov_b32_e32 v0, s1
	v_add_co_u32_e32 v2, vcc, s0, v2
	v_addc_co_u32_e32 v0, vcc, v0, v3, vcc
	v_lshlrev_b32_e32 v3, 5, v4
	v_add_co_u32_e32 v6, vcc, v2, v3
	v_addc_co_u32_e32 v7, vcc, 0, v0, vcc
	v_mov_b32_e32 v3, 0x3ff00000
	v_mov_b32_e32 v0, v1
	;; [unrolled: 1-line block ×3, first 2 shown]
	global_store_dwordx4 v[6:7], v[0:3], off
	v_mov_b32_e32 v5, 0x40080000
	v_mov_b32_e32 v3, 2.0
	v_mov_b32_e32 v4, v1
	global_store_dwordx4 v[6:7], v[2:5], off offset:16
	s_endpgm
	.section	.rodata,"a",@progbits
	.p2align	6, 0x0
	.amdhsa_kernel _Z17warp_store_kernelILj256ELj4ELj64ELN6hipcub18WarpStoreAlgorithmE0EdEvPT3_
		.amdhsa_group_segment_fixed_size 0
		.amdhsa_private_segment_fixed_size 0
		.amdhsa_kernarg_size 8
		.amdhsa_user_sgpr_count 6
		.amdhsa_user_sgpr_private_segment_buffer 1
		.amdhsa_user_sgpr_dispatch_ptr 0
		.amdhsa_user_sgpr_queue_ptr 0
		.amdhsa_user_sgpr_kernarg_segment_ptr 1
		.amdhsa_user_sgpr_dispatch_id 0
		.amdhsa_user_sgpr_flat_scratch_init 0
		.amdhsa_user_sgpr_private_segment_size 0
		.amdhsa_uses_dynamic_stack 0
		.amdhsa_system_sgpr_private_segment_wavefront_offset 0
		.amdhsa_system_sgpr_workgroup_id_x 1
		.amdhsa_system_sgpr_workgroup_id_y 0
		.amdhsa_system_sgpr_workgroup_id_z 0
		.amdhsa_system_sgpr_workgroup_info 0
		.amdhsa_system_vgpr_workitem_id 0
		.amdhsa_next_free_vgpr 8
		.amdhsa_next_free_sgpr 7
		.amdhsa_reserve_vcc 1
		.amdhsa_reserve_flat_scratch 0
		.amdhsa_float_round_mode_32 0
		.amdhsa_float_round_mode_16_64 0
		.amdhsa_float_denorm_mode_32 3
		.amdhsa_float_denorm_mode_16_64 3
		.amdhsa_dx10_clamp 1
		.amdhsa_ieee_mode 1
		.amdhsa_fp16_overflow 0
		.amdhsa_exception_fp_ieee_invalid_op 0
		.amdhsa_exception_fp_denorm_src 0
		.amdhsa_exception_fp_ieee_div_zero 0
		.amdhsa_exception_fp_ieee_overflow 0
		.amdhsa_exception_fp_ieee_underflow 0
		.amdhsa_exception_fp_ieee_inexact 0
		.amdhsa_exception_int_div_zero 0
	.end_amdhsa_kernel
	.section	.text._Z17warp_store_kernelILj256ELj4ELj64ELN6hipcub18WarpStoreAlgorithmE0EdEvPT3_,"axG",@progbits,_Z17warp_store_kernelILj256ELj4ELj64ELN6hipcub18WarpStoreAlgorithmE0EdEvPT3_,comdat
.Lfunc_end56:
	.size	_Z17warp_store_kernelILj256ELj4ELj64ELN6hipcub18WarpStoreAlgorithmE0EdEvPT3_, .Lfunc_end56-_Z17warp_store_kernelILj256ELj4ELj64ELN6hipcub18WarpStoreAlgorithmE0EdEvPT3_
                                        ; -- End function
	.set _Z17warp_store_kernelILj256ELj4ELj64ELN6hipcub18WarpStoreAlgorithmE0EdEvPT3_.num_vgpr, 8
	.set _Z17warp_store_kernelILj256ELj4ELj64ELN6hipcub18WarpStoreAlgorithmE0EdEvPT3_.num_agpr, 0
	.set _Z17warp_store_kernelILj256ELj4ELj64ELN6hipcub18WarpStoreAlgorithmE0EdEvPT3_.numbered_sgpr, 7
	.set _Z17warp_store_kernelILj256ELj4ELj64ELN6hipcub18WarpStoreAlgorithmE0EdEvPT3_.num_named_barrier, 0
	.set _Z17warp_store_kernelILj256ELj4ELj64ELN6hipcub18WarpStoreAlgorithmE0EdEvPT3_.private_seg_size, 0
	.set _Z17warp_store_kernelILj256ELj4ELj64ELN6hipcub18WarpStoreAlgorithmE0EdEvPT3_.uses_vcc, 1
	.set _Z17warp_store_kernelILj256ELj4ELj64ELN6hipcub18WarpStoreAlgorithmE0EdEvPT3_.uses_flat_scratch, 0
	.set _Z17warp_store_kernelILj256ELj4ELj64ELN6hipcub18WarpStoreAlgorithmE0EdEvPT3_.has_dyn_sized_stack, 0
	.set _Z17warp_store_kernelILj256ELj4ELj64ELN6hipcub18WarpStoreAlgorithmE0EdEvPT3_.has_recursion, 0
	.set _Z17warp_store_kernelILj256ELj4ELj64ELN6hipcub18WarpStoreAlgorithmE0EdEvPT3_.has_indirect_call, 0
	.section	.AMDGPU.csdata,"",@progbits
; Kernel info:
; codeLenInByte = 136
; TotalNumSgprs: 11
; NumVgprs: 8
; ScratchSize: 0
; MemoryBound: 0
; FloatMode: 240
; IeeeMode: 1
; LDSByteSize: 0 bytes/workgroup (compile time only)
; SGPRBlocks: 1
; VGPRBlocks: 1
; NumSGPRsForWavesPerEU: 11
; NumVGPRsForWavesPerEU: 8
; Occupancy: 10
; WaveLimiterHint : 0
; COMPUTE_PGM_RSRC2:SCRATCH_EN: 0
; COMPUTE_PGM_RSRC2:USER_SGPR: 6
; COMPUTE_PGM_RSRC2:TRAP_HANDLER: 0
; COMPUTE_PGM_RSRC2:TGID_X_EN: 1
; COMPUTE_PGM_RSRC2:TGID_Y_EN: 0
; COMPUTE_PGM_RSRC2:TGID_Z_EN: 0
; COMPUTE_PGM_RSRC2:TIDIG_COMP_CNT: 0
	.section	.text._Z17warp_store_kernelILj256ELj4ELj64ELN6hipcub18WarpStoreAlgorithmE1EdEvPT3_,"axG",@progbits,_Z17warp_store_kernelILj256ELj4ELj64ELN6hipcub18WarpStoreAlgorithmE1EdEvPT3_,comdat
	.protected	_Z17warp_store_kernelILj256ELj4ELj64ELN6hipcub18WarpStoreAlgorithmE1EdEvPT3_ ; -- Begin function _Z17warp_store_kernelILj256ELj4ELj64ELN6hipcub18WarpStoreAlgorithmE1EdEvPT3_
	.globl	_Z17warp_store_kernelILj256ELj4ELj64ELN6hipcub18WarpStoreAlgorithmE1EdEvPT3_
	.p2align	8
	.type	_Z17warp_store_kernelILj256ELj4ELj64ELN6hipcub18WarpStoreAlgorithmE1EdEvPT3_,@function
_Z17warp_store_kernelILj256ELj4ELj64ELN6hipcub18WarpStoreAlgorithmE1EdEvPT3_: ; @_Z17warp_store_kernelILj256ELj4ELj64ELN6hipcub18WarpStoreAlgorithmE1EdEvPT3_
; %bb.0:
	s_load_dwordx2 s[0:1], s[4:5], 0x0
	v_lshlrev_b32_e32 v0, 2, v0
	v_mbcnt_lo_u32_b32 v1, -1, 0
	v_and_b32_e32 v0, 0x300, v0
	v_mbcnt_hi_u32_b32 v4, -1, v1
	v_lshl_or_b32 v0, s6, 10, v0
	v_mov_b32_e32 v1, 0
	v_lshlrev_b64 v[2:3], 3, v[0:1]
	s_waitcnt lgkmcnt(0)
	v_mov_b32_e32 v0, s1
	v_add_co_u32_e32 v2, vcc, s0, v2
	v_addc_co_u32_e32 v0, vcc, v0, v3, vcc
	v_lshlrev_b32_e32 v3, 3, v4
	v_add_co_u32_e32 v2, vcc, v2, v3
	v_lshlrev_b32_e32 v3, 5, v4
	v_addc_co_u32_e32 v0, vcc, 0, v0, vcc
	v_and_b32_e32 v3, 0x800, v3
	v_add_co_u32_e32 v2, vcc, v2, v3
	v_addc_co_u32_e32 v3, vcc, 0, v0, vcc
	v_mov_b32_e32 v5, 0x3ff00000
	v_mov_b32_e32 v4, v1
	global_store_dwordx2 v[2:3], v[4:5], off offset:512
	v_mov_b32_e32 v5, 2.0
	v_mov_b32_e32 v0, v1
	global_store_dwordx2 v[2:3], v[4:5], off offset:1024
	v_mov_b32_e32 v5, 0x40080000
	global_store_dwordx2 v[2:3], v[0:1], off
	global_store_dwordx2 v[2:3], v[4:5], off offset:1536
	s_endpgm
	.section	.rodata,"a",@progbits
	.p2align	6, 0x0
	.amdhsa_kernel _Z17warp_store_kernelILj256ELj4ELj64ELN6hipcub18WarpStoreAlgorithmE1EdEvPT3_
		.amdhsa_group_segment_fixed_size 0
		.amdhsa_private_segment_fixed_size 0
		.amdhsa_kernarg_size 8
		.amdhsa_user_sgpr_count 6
		.amdhsa_user_sgpr_private_segment_buffer 1
		.amdhsa_user_sgpr_dispatch_ptr 0
		.amdhsa_user_sgpr_queue_ptr 0
		.amdhsa_user_sgpr_kernarg_segment_ptr 1
		.amdhsa_user_sgpr_dispatch_id 0
		.amdhsa_user_sgpr_flat_scratch_init 0
		.amdhsa_user_sgpr_private_segment_size 0
		.amdhsa_uses_dynamic_stack 0
		.amdhsa_system_sgpr_private_segment_wavefront_offset 0
		.amdhsa_system_sgpr_workgroup_id_x 1
		.amdhsa_system_sgpr_workgroup_id_y 0
		.amdhsa_system_sgpr_workgroup_id_z 0
		.amdhsa_system_sgpr_workgroup_info 0
		.amdhsa_system_vgpr_workitem_id 0
		.amdhsa_next_free_vgpr 6
		.amdhsa_next_free_sgpr 7
		.amdhsa_reserve_vcc 1
		.amdhsa_reserve_flat_scratch 0
		.amdhsa_float_round_mode_32 0
		.amdhsa_float_round_mode_16_64 0
		.amdhsa_float_denorm_mode_32 3
		.amdhsa_float_denorm_mode_16_64 3
		.amdhsa_dx10_clamp 1
		.amdhsa_ieee_mode 1
		.amdhsa_fp16_overflow 0
		.amdhsa_exception_fp_ieee_invalid_op 0
		.amdhsa_exception_fp_denorm_src 0
		.amdhsa_exception_fp_ieee_div_zero 0
		.amdhsa_exception_fp_ieee_overflow 0
		.amdhsa_exception_fp_ieee_underflow 0
		.amdhsa_exception_fp_ieee_inexact 0
		.amdhsa_exception_int_div_zero 0
	.end_amdhsa_kernel
	.section	.text._Z17warp_store_kernelILj256ELj4ELj64ELN6hipcub18WarpStoreAlgorithmE1EdEvPT3_,"axG",@progbits,_Z17warp_store_kernelILj256ELj4ELj64ELN6hipcub18WarpStoreAlgorithmE1EdEvPT3_,comdat
.Lfunc_end57:
	.size	_Z17warp_store_kernelILj256ELj4ELj64ELN6hipcub18WarpStoreAlgorithmE1EdEvPT3_, .Lfunc_end57-_Z17warp_store_kernelILj256ELj4ELj64ELN6hipcub18WarpStoreAlgorithmE1EdEvPT3_
                                        ; -- End function
	.set _Z17warp_store_kernelILj256ELj4ELj64ELN6hipcub18WarpStoreAlgorithmE1EdEvPT3_.num_vgpr, 6
	.set _Z17warp_store_kernelILj256ELj4ELj64ELN6hipcub18WarpStoreAlgorithmE1EdEvPT3_.num_agpr, 0
	.set _Z17warp_store_kernelILj256ELj4ELj64ELN6hipcub18WarpStoreAlgorithmE1EdEvPT3_.numbered_sgpr, 7
	.set _Z17warp_store_kernelILj256ELj4ELj64ELN6hipcub18WarpStoreAlgorithmE1EdEvPT3_.num_named_barrier, 0
	.set _Z17warp_store_kernelILj256ELj4ELj64ELN6hipcub18WarpStoreAlgorithmE1EdEvPT3_.private_seg_size, 0
	.set _Z17warp_store_kernelILj256ELj4ELj64ELN6hipcub18WarpStoreAlgorithmE1EdEvPT3_.uses_vcc, 1
	.set _Z17warp_store_kernelILj256ELj4ELj64ELN6hipcub18WarpStoreAlgorithmE1EdEvPT3_.uses_flat_scratch, 0
	.set _Z17warp_store_kernelILj256ELj4ELj64ELN6hipcub18WarpStoreAlgorithmE1EdEvPT3_.has_dyn_sized_stack, 0
	.set _Z17warp_store_kernelILj256ELj4ELj64ELN6hipcub18WarpStoreAlgorithmE1EdEvPT3_.has_recursion, 0
	.set _Z17warp_store_kernelILj256ELj4ELj64ELN6hipcub18WarpStoreAlgorithmE1EdEvPT3_.has_indirect_call, 0
	.section	.AMDGPU.csdata,"",@progbits
; Kernel info:
; codeLenInByte = 168
; TotalNumSgprs: 11
; NumVgprs: 6
; ScratchSize: 0
; MemoryBound: 0
; FloatMode: 240
; IeeeMode: 1
; LDSByteSize: 0 bytes/workgroup (compile time only)
; SGPRBlocks: 1
; VGPRBlocks: 1
; NumSGPRsForWavesPerEU: 11
; NumVGPRsForWavesPerEU: 6
; Occupancy: 10
; WaveLimiterHint : 1
; COMPUTE_PGM_RSRC2:SCRATCH_EN: 0
; COMPUTE_PGM_RSRC2:USER_SGPR: 6
; COMPUTE_PGM_RSRC2:TRAP_HANDLER: 0
; COMPUTE_PGM_RSRC2:TGID_X_EN: 1
; COMPUTE_PGM_RSRC2:TGID_Y_EN: 0
; COMPUTE_PGM_RSRC2:TGID_Z_EN: 0
; COMPUTE_PGM_RSRC2:TIDIG_COMP_CNT: 0
	.section	.text._Z17warp_store_kernelILj256ELj4ELj64ELN6hipcub18WarpStoreAlgorithmE2EdEvPT3_,"axG",@progbits,_Z17warp_store_kernelILj256ELj4ELj64ELN6hipcub18WarpStoreAlgorithmE2EdEvPT3_,comdat
	.protected	_Z17warp_store_kernelILj256ELj4ELj64ELN6hipcub18WarpStoreAlgorithmE2EdEvPT3_ ; -- Begin function _Z17warp_store_kernelILj256ELj4ELj64ELN6hipcub18WarpStoreAlgorithmE2EdEvPT3_
	.globl	_Z17warp_store_kernelILj256ELj4ELj64ELN6hipcub18WarpStoreAlgorithmE2EdEvPT3_
	.p2align	8
	.type	_Z17warp_store_kernelILj256ELj4ELj64ELN6hipcub18WarpStoreAlgorithmE2EdEvPT3_,@function
_Z17warp_store_kernelILj256ELj4ELj64ELN6hipcub18WarpStoreAlgorithmE2EdEvPT3_: ; @_Z17warp_store_kernelILj256ELj4ELj64ELN6hipcub18WarpStoreAlgorithmE2EdEvPT3_
; %bb.0:
	s_load_dwordx2 s[0:1], s[4:5], 0x0
	v_lshlrev_b32_e32 v0, 2, v0
	v_mbcnt_lo_u32_b32 v1, -1, 0
	v_and_b32_e32 v0, 0x300, v0
	v_mbcnt_hi_u32_b32 v4, -1, v1
	v_lshl_or_b32 v0, s6, 10, v0
	v_mov_b32_e32 v1, 0
	v_lshlrev_b64 v[2:3], 3, v[0:1]
	s_waitcnt lgkmcnt(0)
	v_mov_b32_e32 v0, s1
	v_add_co_u32_e32 v2, vcc, s0, v2
	v_addc_co_u32_e32 v0, vcc, v0, v3, vcc
	v_lshlrev_b32_e32 v3, 5, v4
	v_add_co_u32_e32 v6, vcc, v2, v3
	v_addc_co_u32_e32 v7, vcc, 0, v0, vcc
	v_mov_b32_e32 v3, 0x3ff00000
	v_mov_b32_e32 v0, v1
	;; [unrolled: 1-line block ×3, first 2 shown]
	global_store_dwordx4 v[6:7], v[0:3], off
	v_mov_b32_e32 v5, 0x40080000
	v_mov_b32_e32 v3, 2.0
	v_mov_b32_e32 v4, v1
	global_store_dwordx4 v[6:7], v[2:5], off offset:16
	s_endpgm
	.section	.rodata,"a",@progbits
	.p2align	6, 0x0
	.amdhsa_kernel _Z17warp_store_kernelILj256ELj4ELj64ELN6hipcub18WarpStoreAlgorithmE2EdEvPT3_
		.amdhsa_group_segment_fixed_size 0
		.amdhsa_private_segment_fixed_size 0
		.amdhsa_kernarg_size 8
		.amdhsa_user_sgpr_count 6
		.amdhsa_user_sgpr_private_segment_buffer 1
		.amdhsa_user_sgpr_dispatch_ptr 0
		.amdhsa_user_sgpr_queue_ptr 0
		.amdhsa_user_sgpr_kernarg_segment_ptr 1
		.amdhsa_user_sgpr_dispatch_id 0
		.amdhsa_user_sgpr_flat_scratch_init 0
		.amdhsa_user_sgpr_private_segment_size 0
		.amdhsa_uses_dynamic_stack 0
		.amdhsa_system_sgpr_private_segment_wavefront_offset 0
		.amdhsa_system_sgpr_workgroup_id_x 1
		.amdhsa_system_sgpr_workgroup_id_y 0
		.amdhsa_system_sgpr_workgroup_id_z 0
		.amdhsa_system_sgpr_workgroup_info 0
		.amdhsa_system_vgpr_workitem_id 0
		.amdhsa_next_free_vgpr 8
		.amdhsa_next_free_sgpr 7
		.amdhsa_reserve_vcc 1
		.amdhsa_reserve_flat_scratch 0
		.amdhsa_float_round_mode_32 0
		.amdhsa_float_round_mode_16_64 0
		.amdhsa_float_denorm_mode_32 3
		.amdhsa_float_denorm_mode_16_64 3
		.amdhsa_dx10_clamp 1
		.amdhsa_ieee_mode 1
		.amdhsa_fp16_overflow 0
		.amdhsa_exception_fp_ieee_invalid_op 0
		.amdhsa_exception_fp_denorm_src 0
		.amdhsa_exception_fp_ieee_div_zero 0
		.amdhsa_exception_fp_ieee_overflow 0
		.amdhsa_exception_fp_ieee_underflow 0
		.amdhsa_exception_fp_ieee_inexact 0
		.amdhsa_exception_int_div_zero 0
	.end_amdhsa_kernel
	.section	.text._Z17warp_store_kernelILj256ELj4ELj64ELN6hipcub18WarpStoreAlgorithmE2EdEvPT3_,"axG",@progbits,_Z17warp_store_kernelILj256ELj4ELj64ELN6hipcub18WarpStoreAlgorithmE2EdEvPT3_,comdat
.Lfunc_end58:
	.size	_Z17warp_store_kernelILj256ELj4ELj64ELN6hipcub18WarpStoreAlgorithmE2EdEvPT3_, .Lfunc_end58-_Z17warp_store_kernelILj256ELj4ELj64ELN6hipcub18WarpStoreAlgorithmE2EdEvPT3_
                                        ; -- End function
	.set _Z17warp_store_kernelILj256ELj4ELj64ELN6hipcub18WarpStoreAlgorithmE2EdEvPT3_.num_vgpr, 8
	.set _Z17warp_store_kernelILj256ELj4ELj64ELN6hipcub18WarpStoreAlgorithmE2EdEvPT3_.num_agpr, 0
	.set _Z17warp_store_kernelILj256ELj4ELj64ELN6hipcub18WarpStoreAlgorithmE2EdEvPT3_.numbered_sgpr, 7
	.set _Z17warp_store_kernelILj256ELj4ELj64ELN6hipcub18WarpStoreAlgorithmE2EdEvPT3_.num_named_barrier, 0
	.set _Z17warp_store_kernelILj256ELj4ELj64ELN6hipcub18WarpStoreAlgorithmE2EdEvPT3_.private_seg_size, 0
	.set _Z17warp_store_kernelILj256ELj4ELj64ELN6hipcub18WarpStoreAlgorithmE2EdEvPT3_.uses_vcc, 1
	.set _Z17warp_store_kernelILj256ELj4ELj64ELN6hipcub18WarpStoreAlgorithmE2EdEvPT3_.uses_flat_scratch, 0
	.set _Z17warp_store_kernelILj256ELj4ELj64ELN6hipcub18WarpStoreAlgorithmE2EdEvPT3_.has_dyn_sized_stack, 0
	.set _Z17warp_store_kernelILj256ELj4ELj64ELN6hipcub18WarpStoreAlgorithmE2EdEvPT3_.has_recursion, 0
	.set _Z17warp_store_kernelILj256ELj4ELj64ELN6hipcub18WarpStoreAlgorithmE2EdEvPT3_.has_indirect_call, 0
	.section	.AMDGPU.csdata,"",@progbits
; Kernel info:
; codeLenInByte = 136
; TotalNumSgprs: 11
; NumVgprs: 8
; ScratchSize: 0
; MemoryBound: 0
; FloatMode: 240
; IeeeMode: 1
; LDSByteSize: 0 bytes/workgroup (compile time only)
; SGPRBlocks: 1
; VGPRBlocks: 1
; NumSGPRsForWavesPerEU: 11
; NumVGPRsForWavesPerEU: 8
; Occupancy: 10
; WaveLimiterHint : 0
; COMPUTE_PGM_RSRC2:SCRATCH_EN: 0
; COMPUTE_PGM_RSRC2:USER_SGPR: 6
; COMPUTE_PGM_RSRC2:TRAP_HANDLER: 0
; COMPUTE_PGM_RSRC2:TGID_X_EN: 1
; COMPUTE_PGM_RSRC2:TGID_Y_EN: 0
; COMPUTE_PGM_RSRC2:TGID_Z_EN: 0
; COMPUTE_PGM_RSRC2:TIDIG_COMP_CNT: 0
	.section	.text._Z17warp_store_kernelILj256ELj4ELj64ELN6hipcub18WarpStoreAlgorithmE3EdEvPT3_,"axG",@progbits,_Z17warp_store_kernelILj256ELj4ELj64ELN6hipcub18WarpStoreAlgorithmE3EdEvPT3_,comdat
	.protected	_Z17warp_store_kernelILj256ELj4ELj64ELN6hipcub18WarpStoreAlgorithmE3EdEvPT3_ ; -- Begin function _Z17warp_store_kernelILj256ELj4ELj64ELN6hipcub18WarpStoreAlgorithmE3EdEvPT3_
	.globl	_Z17warp_store_kernelILj256ELj4ELj64ELN6hipcub18WarpStoreAlgorithmE3EdEvPT3_
	.p2align	8
	.type	_Z17warp_store_kernelILj256ELj4ELj64ELN6hipcub18WarpStoreAlgorithmE3EdEvPT3_,@function
_Z17warp_store_kernelILj256ELj4ELj64ELN6hipcub18WarpStoreAlgorithmE3EdEvPT3_: ; @_Z17warp_store_kernelILj256ELj4ELj64ELN6hipcub18WarpStoreAlgorithmE3EdEvPT3_
; %bb.0:
	s_load_dwordx2 s[0:1], s[4:5], 0x0
	v_lshrrev_b32_e32 v0, 6, v0
	v_mbcnt_lo_u32_b32 v1, -1, 0
	s_lshl_b32 s2, s6, 10
	v_lshlrev_b32_e32 v6, 11, v0
	v_mbcnt_hi_u32_b32 v7, -1, v1
	v_lshl_or_b32 v0, v0, 8, s2
	v_mov_b32_e32 v1, 0
	v_lshlrev_b64 v[2:3], 3, v[0:1]
	s_waitcnt lgkmcnt(0)
	v_mov_b32_e32 v0, s1
	v_add_co_u32_e32 v8, vcc, s0, v2
	v_lshlrev_b32_e32 v10, 5, v7
	v_addc_co_u32_e32 v9, vcc, v0, v3, vcc
	v_add_u32_e32 v11, v6, v10
	v_mov_b32_e32 v3, 0x3ff00000
	v_mov_b32_e32 v0, v1
	v_mov_b32_e32 v2, v1
	ds_write_b128 v11, v[0:3]
	v_mov_b32_e32 v3, 2.0
	v_mov_b32_e32 v5, 0x40080000
	v_mov_b32_e32 v4, v1
	ds_write_b128 v11, v[2:5] offset:16
	v_lshlrev_b32_e32 v11, 3, v7
	v_or_b32_e32 v4, v6, v11
	; wave barrier
	ds_read2st64_b64 v[0:3], v4 offset1:1
	ds_read2st64_b64 v[4:7], v4 offset0:2 offset1:3
	v_add_co_u32_e32 v8, vcc, v8, v11
	v_addc_co_u32_e32 v9, vcc, 0, v9, vcc
	v_and_b32_e32 v10, 0x800, v10
	v_add_co_u32_e32 v8, vcc, v8, v10
	v_addc_co_u32_e32 v9, vcc, 0, v9, vcc
	s_waitcnt lgkmcnt(1)
	global_store_dwordx2 v[8:9], v[0:1], off
	global_store_dwordx2 v[8:9], v[2:3], off offset:512
	s_waitcnt lgkmcnt(0)
	global_store_dwordx2 v[8:9], v[4:5], off offset:1024
	global_store_dwordx2 v[8:9], v[6:7], off offset:1536
	s_endpgm
	.section	.rodata,"a",@progbits
	.p2align	6, 0x0
	.amdhsa_kernel _Z17warp_store_kernelILj256ELj4ELj64ELN6hipcub18WarpStoreAlgorithmE3EdEvPT3_
		.amdhsa_group_segment_fixed_size 8192
		.amdhsa_private_segment_fixed_size 0
		.amdhsa_kernarg_size 8
		.amdhsa_user_sgpr_count 6
		.amdhsa_user_sgpr_private_segment_buffer 1
		.amdhsa_user_sgpr_dispatch_ptr 0
		.amdhsa_user_sgpr_queue_ptr 0
		.amdhsa_user_sgpr_kernarg_segment_ptr 1
		.amdhsa_user_sgpr_dispatch_id 0
		.amdhsa_user_sgpr_flat_scratch_init 0
		.amdhsa_user_sgpr_private_segment_size 0
		.amdhsa_uses_dynamic_stack 0
		.amdhsa_system_sgpr_private_segment_wavefront_offset 0
		.amdhsa_system_sgpr_workgroup_id_x 1
		.amdhsa_system_sgpr_workgroup_id_y 0
		.amdhsa_system_sgpr_workgroup_id_z 0
		.amdhsa_system_sgpr_workgroup_info 0
		.amdhsa_system_vgpr_workitem_id 0
		.amdhsa_next_free_vgpr 29
		.amdhsa_next_free_sgpr 61
		.amdhsa_reserve_vcc 1
		.amdhsa_reserve_flat_scratch 0
		.amdhsa_float_round_mode_32 0
		.amdhsa_float_round_mode_16_64 0
		.amdhsa_float_denorm_mode_32 3
		.amdhsa_float_denorm_mode_16_64 3
		.amdhsa_dx10_clamp 1
		.amdhsa_ieee_mode 1
		.amdhsa_fp16_overflow 0
		.amdhsa_exception_fp_ieee_invalid_op 0
		.amdhsa_exception_fp_denorm_src 0
		.amdhsa_exception_fp_ieee_div_zero 0
		.amdhsa_exception_fp_ieee_overflow 0
		.amdhsa_exception_fp_ieee_underflow 0
		.amdhsa_exception_fp_ieee_inexact 0
		.amdhsa_exception_int_div_zero 0
	.end_amdhsa_kernel
	.section	.text._Z17warp_store_kernelILj256ELj4ELj64ELN6hipcub18WarpStoreAlgorithmE3EdEvPT3_,"axG",@progbits,_Z17warp_store_kernelILj256ELj4ELj64ELN6hipcub18WarpStoreAlgorithmE3EdEvPT3_,comdat
.Lfunc_end59:
	.size	_Z17warp_store_kernelILj256ELj4ELj64ELN6hipcub18WarpStoreAlgorithmE3EdEvPT3_, .Lfunc_end59-_Z17warp_store_kernelILj256ELj4ELj64ELN6hipcub18WarpStoreAlgorithmE3EdEvPT3_
                                        ; -- End function
	.set _Z17warp_store_kernelILj256ELj4ELj64ELN6hipcub18WarpStoreAlgorithmE3EdEvPT3_.num_vgpr, 12
	.set _Z17warp_store_kernelILj256ELj4ELj64ELN6hipcub18WarpStoreAlgorithmE3EdEvPT3_.num_agpr, 0
	.set _Z17warp_store_kernelILj256ELj4ELj64ELN6hipcub18WarpStoreAlgorithmE3EdEvPT3_.numbered_sgpr, 7
	.set _Z17warp_store_kernelILj256ELj4ELj64ELN6hipcub18WarpStoreAlgorithmE3EdEvPT3_.num_named_barrier, 0
	.set _Z17warp_store_kernelILj256ELj4ELj64ELN6hipcub18WarpStoreAlgorithmE3EdEvPT3_.private_seg_size, 0
	.set _Z17warp_store_kernelILj256ELj4ELj64ELN6hipcub18WarpStoreAlgorithmE3EdEvPT3_.uses_vcc, 1
	.set _Z17warp_store_kernelILj256ELj4ELj64ELN6hipcub18WarpStoreAlgorithmE3EdEvPT3_.uses_flat_scratch, 0
	.set _Z17warp_store_kernelILj256ELj4ELj64ELN6hipcub18WarpStoreAlgorithmE3EdEvPT3_.has_dyn_sized_stack, 0
	.set _Z17warp_store_kernelILj256ELj4ELj64ELN6hipcub18WarpStoreAlgorithmE3EdEvPT3_.has_recursion, 0
	.set _Z17warp_store_kernelILj256ELj4ELj64ELN6hipcub18WarpStoreAlgorithmE3EdEvPT3_.has_indirect_call, 0
	.section	.AMDGPU.csdata,"",@progbits
; Kernel info:
; codeLenInByte = 220
; TotalNumSgprs: 11
; NumVgprs: 12
; ScratchSize: 0
; MemoryBound: 1
; FloatMode: 240
; IeeeMode: 1
; LDSByteSize: 8192 bytes/workgroup (compile time only)
; SGPRBlocks: 8
; VGPRBlocks: 7
; NumSGPRsForWavesPerEU: 65
; NumVGPRsForWavesPerEU: 29
; Occupancy: 8
; WaveLimiterHint : 1
; COMPUTE_PGM_RSRC2:SCRATCH_EN: 0
; COMPUTE_PGM_RSRC2:USER_SGPR: 6
; COMPUTE_PGM_RSRC2:TRAP_HANDLER: 0
; COMPUTE_PGM_RSRC2:TGID_X_EN: 1
; COMPUTE_PGM_RSRC2:TGID_Y_EN: 0
; COMPUTE_PGM_RSRC2:TGID_Z_EN: 0
; COMPUTE_PGM_RSRC2:TIDIG_COMP_CNT: 0
	.section	.text._Z17warp_store_kernelILj256ELj8ELj64ELN6hipcub18WarpStoreAlgorithmE0EdEvPT3_,"axG",@progbits,_Z17warp_store_kernelILj256ELj8ELj64ELN6hipcub18WarpStoreAlgorithmE0EdEvPT3_,comdat
	.protected	_Z17warp_store_kernelILj256ELj8ELj64ELN6hipcub18WarpStoreAlgorithmE0EdEvPT3_ ; -- Begin function _Z17warp_store_kernelILj256ELj8ELj64ELN6hipcub18WarpStoreAlgorithmE0EdEvPT3_
	.globl	_Z17warp_store_kernelILj256ELj8ELj64ELN6hipcub18WarpStoreAlgorithmE0EdEvPT3_
	.p2align	8
	.type	_Z17warp_store_kernelILj256ELj8ELj64ELN6hipcub18WarpStoreAlgorithmE0EdEvPT3_,@function
_Z17warp_store_kernelILj256ELj8ELj64ELN6hipcub18WarpStoreAlgorithmE0EdEvPT3_: ; @_Z17warp_store_kernelILj256ELj8ELj64ELN6hipcub18WarpStoreAlgorithmE0EdEvPT3_
; %bb.0:
	s_load_dwordx2 s[0:1], s[4:5], 0x0
	v_lshlrev_b32_e32 v0, 3, v0
	v_mbcnt_lo_u32_b32 v1, -1, 0
	v_and_b32_e32 v0, 0x600, v0
	v_mbcnt_hi_u32_b32 v4, -1, v1
	v_lshl_or_b32 v0, s6, 11, v0
	v_mov_b32_e32 v1, 0
	v_lshlrev_b64 v[2:3], 3, v[0:1]
	s_waitcnt lgkmcnt(0)
	v_mov_b32_e32 v0, s1
	v_add_co_u32_e32 v2, vcc, s0, v2
	v_addc_co_u32_e32 v0, vcc, v0, v3, vcc
	v_lshlrev_b32_e32 v3, 6, v4
	v_add_co_u32_e32 v6, vcc, v2, v3
	v_addc_co_u32_e32 v7, vcc, 0, v0, vcc
	v_mov_b32_e32 v3, 0x3ff00000
	v_mov_b32_e32 v0, v1
	v_mov_b32_e32 v2, v1
	global_store_dwordx4 v[6:7], v[0:3], off
	v_mov_b32_e32 v5, 0x40080000
	v_mov_b32_e32 v3, 2.0
	v_mov_b32_e32 v4, v1
	global_store_dwordx4 v[6:7], v[2:5], off offset:16
	s_nop 0
	v_mov_b32_e32 v3, 0x40100000
	v_mov_b32_e32 v5, 0x40140000
	global_store_dwordx4 v[6:7], v[2:5], off offset:32
	s_nop 0
	v_mov_b32_e32 v3, 0x40180000
	v_mov_b32_e32 v5, 0x401c0000
	global_store_dwordx4 v[6:7], v[2:5], off offset:48
	s_endpgm
	.section	.rodata,"a",@progbits
	.p2align	6, 0x0
	.amdhsa_kernel _Z17warp_store_kernelILj256ELj8ELj64ELN6hipcub18WarpStoreAlgorithmE0EdEvPT3_
		.amdhsa_group_segment_fixed_size 0
		.amdhsa_private_segment_fixed_size 0
		.amdhsa_kernarg_size 8
		.amdhsa_user_sgpr_count 6
		.amdhsa_user_sgpr_private_segment_buffer 1
		.amdhsa_user_sgpr_dispatch_ptr 0
		.amdhsa_user_sgpr_queue_ptr 0
		.amdhsa_user_sgpr_kernarg_segment_ptr 1
		.amdhsa_user_sgpr_dispatch_id 0
		.amdhsa_user_sgpr_flat_scratch_init 0
		.amdhsa_user_sgpr_private_segment_size 0
		.amdhsa_uses_dynamic_stack 0
		.amdhsa_system_sgpr_private_segment_wavefront_offset 0
		.amdhsa_system_sgpr_workgroup_id_x 1
		.amdhsa_system_sgpr_workgroup_id_y 0
		.amdhsa_system_sgpr_workgroup_id_z 0
		.amdhsa_system_sgpr_workgroup_info 0
		.amdhsa_system_vgpr_workitem_id 0
		.amdhsa_next_free_vgpr 8
		.amdhsa_next_free_sgpr 7
		.amdhsa_reserve_vcc 1
		.amdhsa_reserve_flat_scratch 0
		.amdhsa_float_round_mode_32 0
		.amdhsa_float_round_mode_16_64 0
		.amdhsa_float_denorm_mode_32 3
		.amdhsa_float_denorm_mode_16_64 3
		.amdhsa_dx10_clamp 1
		.amdhsa_ieee_mode 1
		.amdhsa_fp16_overflow 0
		.amdhsa_exception_fp_ieee_invalid_op 0
		.amdhsa_exception_fp_denorm_src 0
		.amdhsa_exception_fp_ieee_div_zero 0
		.amdhsa_exception_fp_ieee_overflow 0
		.amdhsa_exception_fp_ieee_underflow 0
		.amdhsa_exception_fp_ieee_inexact 0
		.amdhsa_exception_int_div_zero 0
	.end_amdhsa_kernel
	.section	.text._Z17warp_store_kernelILj256ELj8ELj64ELN6hipcub18WarpStoreAlgorithmE0EdEvPT3_,"axG",@progbits,_Z17warp_store_kernelILj256ELj8ELj64ELN6hipcub18WarpStoreAlgorithmE0EdEvPT3_,comdat
.Lfunc_end60:
	.size	_Z17warp_store_kernelILj256ELj8ELj64ELN6hipcub18WarpStoreAlgorithmE0EdEvPT3_, .Lfunc_end60-_Z17warp_store_kernelILj256ELj8ELj64ELN6hipcub18WarpStoreAlgorithmE0EdEvPT3_
                                        ; -- End function
	.set _Z17warp_store_kernelILj256ELj8ELj64ELN6hipcub18WarpStoreAlgorithmE0EdEvPT3_.num_vgpr, 8
	.set _Z17warp_store_kernelILj256ELj8ELj64ELN6hipcub18WarpStoreAlgorithmE0EdEvPT3_.num_agpr, 0
	.set _Z17warp_store_kernelILj256ELj8ELj64ELN6hipcub18WarpStoreAlgorithmE0EdEvPT3_.numbered_sgpr, 7
	.set _Z17warp_store_kernelILj256ELj8ELj64ELN6hipcub18WarpStoreAlgorithmE0EdEvPT3_.num_named_barrier, 0
	.set _Z17warp_store_kernelILj256ELj8ELj64ELN6hipcub18WarpStoreAlgorithmE0EdEvPT3_.private_seg_size, 0
	.set _Z17warp_store_kernelILj256ELj8ELj64ELN6hipcub18WarpStoreAlgorithmE0EdEvPT3_.uses_vcc, 1
	.set _Z17warp_store_kernelILj256ELj8ELj64ELN6hipcub18WarpStoreAlgorithmE0EdEvPT3_.uses_flat_scratch, 0
	.set _Z17warp_store_kernelILj256ELj8ELj64ELN6hipcub18WarpStoreAlgorithmE0EdEvPT3_.has_dyn_sized_stack, 0
	.set _Z17warp_store_kernelILj256ELj8ELj64ELN6hipcub18WarpStoreAlgorithmE0EdEvPT3_.has_recursion, 0
	.set _Z17warp_store_kernelILj256ELj8ELj64ELN6hipcub18WarpStoreAlgorithmE0EdEvPT3_.has_indirect_call, 0
	.section	.AMDGPU.csdata,"",@progbits
; Kernel info:
; codeLenInByte = 192
; TotalNumSgprs: 11
; NumVgprs: 8
; ScratchSize: 0
; MemoryBound: 1
; FloatMode: 240
; IeeeMode: 1
; LDSByteSize: 0 bytes/workgroup (compile time only)
; SGPRBlocks: 1
; VGPRBlocks: 1
; NumSGPRsForWavesPerEU: 11
; NumVGPRsForWavesPerEU: 8
; Occupancy: 10
; WaveLimiterHint : 1
; COMPUTE_PGM_RSRC2:SCRATCH_EN: 0
; COMPUTE_PGM_RSRC2:USER_SGPR: 6
; COMPUTE_PGM_RSRC2:TRAP_HANDLER: 0
; COMPUTE_PGM_RSRC2:TGID_X_EN: 1
; COMPUTE_PGM_RSRC2:TGID_Y_EN: 0
; COMPUTE_PGM_RSRC2:TGID_Z_EN: 0
; COMPUTE_PGM_RSRC2:TIDIG_COMP_CNT: 0
	.section	.text._Z17warp_store_kernelILj256ELj8ELj64ELN6hipcub18WarpStoreAlgorithmE1EdEvPT3_,"axG",@progbits,_Z17warp_store_kernelILj256ELj8ELj64ELN6hipcub18WarpStoreAlgorithmE1EdEvPT3_,comdat
	.protected	_Z17warp_store_kernelILj256ELj8ELj64ELN6hipcub18WarpStoreAlgorithmE1EdEvPT3_ ; -- Begin function _Z17warp_store_kernelILj256ELj8ELj64ELN6hipcub18WarpStoreAlgorithmE1EdEvPT3_
	.globl	_Z17warp_store_kernelILj256ELj8ELj64ELN6hipcub18WarpStoreAlgorithmE1EdEvPT3_
	.p2align	8
	.type	_Z17warp_store_kernelILj256ELj8ELj64ELN6hipcub18WarpStoreAlgorithmE1EdEvPT3_,@function
_Z17warp_store_kernelILj256ELj8ELj64ELN6hipcub18WarpStoreAlgorithmE1EdEvPT3_: ; @_Z17warp_store_kernelILj256ELj8ELj64ELN6hipcub18WarpStoreAlgorithmE1EdEvPT3_
; %bb.0:
	s_load_dwordx2 s[0:1], s[4:5], 0x0
	v_lshlrev_b32_e32 v0, 3, v0
	v_mbcnt_lo_u32_b32 v1, -1, 0
	v_and_b32_e32 v0, 0x600, v0
	v_mbcnt_hi_u32_b32 v4, -1, v1
	v_lshl_or_b32 v0, s6, 11, v0
	v_mov_b32_e32 v1, 0
	v_lshlrev_b64 v[2:3], 3, v[0:1]
	s_waitcnt lgkmcnt(0)
	v_mov_b32_e32 v0, s1
	v_add_co_u32_e32 v2, vcc, s0, v2
	v_addc_co_u32_e32 v0, vcc, v0, v3, vcc
	v_lshlrev_b32_e32 v3, 3, v4
	v_add_co_u32_e32 v2, vcc, v2, v3
	v_lshlrev_b32_e32 v3, 6, v4
	v_addc_co_u32_e32 v0, vcc, 0, v0, vcc
	v_and_b32_e32 v3, 0x1000, v3
	v_add_co_u32_e32 v2, vcc, v2, v3
	v_addc_co_u32_e32 v3, vcc, 0, v0, vcc
	v_mov_b32_e32 v5, 0x3ff00000
	v_mov_b32_e32 v4, v1
	global_store_dwordx2 v[2:3], v[4:5], off offset:512
	v_mov_b32_e32 v5, 2.0
	global_store_dwordx2 v[2:3], v[4:5], off offset:1024
	v_mov_b32_e32 v5, 0x40080000
	global_store_dwordx2 v[2:3], v[4:5], off offset:1536
	v_mov_b32_e32 v5, 0x40100000
	;; [unrolled: 2-line block ×4, first 2 shown]
	v_mov_b32_e32 v0, v1
	global_store_dwordx2 v[2:3], v[4:5], off offset:3072
	v_mov_b32_e32 v5, 0x401c0000
	global_store_dwordx2 v[2:3], v[0:1], off
	global_store_dwordx2 v[2:3], v[4:5], off offset:3584
	s_endpgm
	.section	.rodata,"a",@progbits
	.p2align	6, 0x0
	.amdhsa_kernel _Z17warp_store_kernelILj256ELj8ELj64ELN6hipcub18WarpStoreAlgorithmE1EdEvPT3_
		.amdhsa_group_segment_fixed_size 0
		.amdhsa_private_segment_fixed_size 0
		.amdhsa_kernarg_size 8
		.amdhsa_user_sgpr_count 6
		.amdhsa_user_sgpr_private_segment_buffer 1
		.amdhsa_user_sgpr_dispatch_ptr 0
		.amdhsa_user_sgpr_queue_ptr 0
		.amdhsa_user_sgpr_kernarg_segment_ptr 1
		.amdhsa_user_sgpr_dispatch_id 0
		.amdhsa_user_sgpr_flat_scratch_init 0
		.amdhsa_user_sgpr_private_segment_size 0
		.amdhsa_uses_dynamic_stack 0
		.amdhsa_system_sgpr_private_segment_wavefront_offset 0
		.amdhsa_system_sgpr_workgroup_id_x 1
		.amdhsa_system_sgpr_workgroup_id_y 0
		.amdhsa_system_sgpr_workgroup_id_z 0
		.amdhsa_system_sgpr_workgroup_info 0
		.amdhsa_system_vgpr_workitem_id 0
		.amdhsa_next_free_vgpr 6
		.amdhsa_next_free_sgpr 7
		.amdhsa_reserve_vcc 1
		.amdhsa_reserve_flat_scratch 0
		.amdhsa_float_round_mode_32 0
		.amdhsa_float_round_mode_16_64 0
		.amdhsa_float_denorm_mode_32 3
		.amdhsa_float_denorm_mode_16_64 3
		.amdhsa_dx10_clamp 1
		.amdhsa_ieee_mode 1
		.amdhsa_fp16_overflow 0
		.amdhsa_exception_fp_ieee_invalid_op 0
		.amdhsa_exception_fp_denorm_src 0
		.amdhsa_exception_fp_ieee_div_zero 0
		.amdhsa_exception_fp_ieee_overflow 0
		.amdhsa_exception_fp_ieee_underflow 0
		.amdhsa_exception_fp_ieee_inexact 0
		.amdhsa_exception_int_div_zero 0
	.end_amdhsa_kernel
	.section	.text._Z17warp_store_kernelILj256ELj8ELj64ELN6hipcub18WarpStoreAlgorithmE1EdEvPT3_,"axG",@progbits,_Z17warp_store_kernelILj256ELj8ELj64ELN6hipcub18WarpStoreAlgorithmE1EdEvPT3_,comdat
.Lfunc_end61:
	.size	_Z17warp_store_kernelILj256ELj8ELj64ELN6hipcub18WarpStoreAlgorithmE1EdEvPT3_, .Lfunc_end61-_Z17warp_store_kernelILj256ELj8ELj64ELN6hipcub18WarpStoreAlgorithmE1EdEvPT3_
                                        ; -- End function
	.set _Z17warp_store_kernelILj256ELj8ELj64ELN6hipcub18WarpStoreAlgorithmE1EdEvPT3_.num_vgpr, 6
	.set _Z17warp_store_kernelILj256ELj8ELj64ELN6hipcub18WarpStoreAlgorithmE1EdEvPT3_.num_agpr, 0
	.set _Z17warp_store_kernelILj256ELj8ELj64ELN6hipcub18WarpStoreAlgorithmE1EdEvPT3_.numbered_sgpr, 7
	.set _Z17warp_store_kernelILj256ELj8ELj64ELN6hipcub18WarpStoreAlgorithmE1EdEvPT3_.num_named_barrier, 0
	.set _Z17warp_store_kernelILj256ELj8ELj64ELN6hipcub18WarpStoreAlgorithmE1EdEvPT3_.private_seg_size, 0
	.set _Z17warp_store_kernelILj256ELj8ELj64ELN6hipcub18WarpStoreAlgorithmE1EdEvPT3_.uses_vcc, 1
	.set _Z17warp_store_kernelILj256ELj8ELj64ELN6hipcub18WarpStoreAlgorithmE1EdEvPT3_.uses_flat_scratch, 0
	.set _Z17warp_store_kernelILj256ELj8ELj64ELN6hipcub18WarpStoreAlgorithmE1EdEvPT3_.has_dyn_sized_stack, 0
	.set _Z17warp_store_kernelILj256ELj8ELj64ELN6hipcub18WarpStoreAlgorithmE1EdEvPT3_.has_recursion, 0
	.set _Z17warp_store_kernelILj256ELj8ELj64ELN6hipcub18WarpStoreAlgorithmE1EdEvPT3_.has_indirect_call, 0
	.section	.AMDGPU.csdata,"",@progbits
; Kernel info:
; codeLenInByte = 232
; TotalNumSgprs: 11
; NumVgprs: 6
; ScratchSize: 0
; MemoryBound: 0
; FloatMode: 240
; IeeeMode: 1
; LDSByteSize: 0 bytes/workgroup (compile time only)
; SGPRBlocks: 1
; VGPRBlocks: 1
; NumSGPRsForWavesPerEU: 11
; NumVGPRsForWavesPerEU: 6
; Occupancy: 10
; WaveLimiterHint : 1
; COMPUTE_PGM_RSRC2:SCRATCH_EN: 0
; COMPUTE_PGM_RSRC2:USER_SGPR: 6
; COMPUTE_PGM_RSRC2:TRAP_HANDLER: 0
; COMPUTE_PGM_RSRC2:TGID_X_EN: 1
; COMPUTE_PGM_RSRC2:TGID_Y_EN: 0
; COMPUTE_PGM_RSRC2:TGID_Z_EN: 0
; COMPUTE_PGM_RSRC2:TIDIG_COMP_CNT: 0
	.section	.text._Z17warp_store_kernelILj256ELj8ELj64ELN6hipcub18WarpStoreAlgorithmE2EdEvPT3_,"axG",@progbits,_Z17warp_store_kernelILj256ELj8ELj64ELN6hipcub18WarpStoreAlgorithmE2EdEvPT3_,comdat
	.protected	_Z17warp_store_kernelILj256ELj8ELj64ELN6hipcub18WarpStoreAlgorithmE2EdEvPT3_ ; -- Begin function _Z17warp_store_kernelILj256ELj8ELj64ELN6hipcub18WarpStoreAlgorithmE2EdEvPT3_
	.globl	_Z17warp_store_kernelILj256ELj8ELj64ELN6hipcub18WarpStoreAlgorithmE2EdEvPT3_
	.p2align	8
	.type	_Z17warp_store_kernelILj256ELj8ELj64ELN6hipcub18WarpStoreAlgorithmE2EdEvPT3_,@function
_Z17warp_store_kernelILj256ELj8ELj64ELN6hipcub18WarpStoreAlgorithmE2EdEvPT3_: ; @_Z17warp_store_kernelILj256ELj8ELj64ELN6hipcub18WarpStoreAlgorithmE2EdEvPT3_
; %bb.0:
	s_load_dwordx2 s[0:1], s[4:5], 0x0
	v_lshlrev_b32_e32 v0, 3, v0
	v_mbcnt_lo_u32_b32 v1, -1, 0
	v_and_b32_e32 v0, 0x600, v0
	v_mbcnt_hi_u32_b32 v4, -1, v1
	v_lshl_or_b32 v0, s6, 11, v0
	v_mov_b32_e32 v1, 0
	v_lshlrev_b64 v[2:3], 3, v[0:1]
	s_waitcnt lgkmcnt(0)
	v_mov_b32_e32 v0, s1
	v_add_co_u32_e32 v2, vcc, s0, v2
	v_addc_co_u32_e32 v0, vcc, v0, v3, vcc
	v_lshlrev_b32_e32 v3, 6, v4
	v_add_co_u32_e32 v6, vcc, v2, v3
	v_addc_co_u32_e32 v7, vcc, 0, v0, vcc
	v_mov_b32_e32 v3, 0x3ff00000
	v_mov_b32_e32 v0, v1
	;; [unrolled: 1-line block ×3, first 2 shown]
	global_store_dwordx4 v[6:7], v[0:3], off
	v_mov_b32_e32 v5, 0x40080000
	v_mov_b32_e32 v3, 2.0
	v_mov_b32_e32 v4, v1
	global_store_dwordx4 v[6:7], v[2:5], off offset:16
	s_nop 0
	v_mov_b32_e32 v3, 0x40100000
	v_mov_b32_e32 v5, 0x40140000
	global_store_dwordx4 v[6:7], v[2:5], off offset:32
	s_nop 0
	v_mov_b32_e32 v3, 0x40180000
	v_mov_b32_e32 v5, 0x401c0000
	global_store_dwordx4 v[6:7], v[2:5], off offset:48
	s_endpgm
	.section	.rodata,"a",@progbits
	.p2align	6, 0x0
	.amdhsa_kernel _Z17warp_store_kernelILj256ELj8ELj64ELN6hipcub18WarpStoreAlgorithmE2EdEvPT3_
		.amdhsa_group_segment_fixed_size 0
		.amdhsa_private_segment_fixed_size 0
		.amdhsa_kernarg_size 8
		.amdhsa_user_sgpr_count 6
		.amdhsa_user_sgpr_private_segment_buffer 1
		.amdhsa_user_sgpr_dispatch_ptr 0
		.amdhsa_user_sgpr_queue_ptr 0
		.amdhsa_user_sgpr_kernarg_segment_ptr 1
		.amdhsa_user_sgpr_dispatch_id 0
		.amdhsa_user_sgpr_flat_scratch_init 0
		.amdhsa_user_sgpr_private_segment_size 0
		.amdhsa_uses_dynamic_stack 0
		.amdhsa_system_sgpr_private_segment_wavefront_offset 0
		.amdhsa_system_sgpr_workgroup_id_x 1
		.amdhsa_system_sgpr_workgroup_id_y 0
		.amdhsa_system_sgpr_workgroup_id_z 0
		.amdhsa_system_sgpr_workgroup_info 0
		.amdhsa_system_vgpr_workitem_id 0
		.amdhsa_next_free_vgpr 8
		.amdhsa_next_free_sgpr 7
		.amdhsa_reserve_vcc 1
		.amdhsa_reserve_flat_scratch 0
		.amdhsa_float_round_mode_32 0
		.amdhsa_float_round_mode_16_64 0
		.amdhsa_float_denorm_mode_32 3
		.amdhsa_float_denorm_mode_16_64 3
		.amdhsa_dx10_clamp 1
		.amdhsa_ieee_mode 1
		.amdhsa_fp16_overflow 0
		.amdhsa_exception_fp_ieee_invalid_op 0
		.amdhsa_exception_fp_denorm_src 0
		.amdhsa_exception_fp_ieee_div_zero 0
		.amdhsa_exception_fp_ieee_overflow 0
		.amdhsa_exception_fp_ieee_underflow 0
		.amdhsa_exception_fp_ieee_inexact 0
		.amdhsa_exception_int_div_zero 0
	.end_amdhsa_kernel
	.section	.text._Z17warp_store_kernelILj256ELj8ELj64ELN6hipcub18WarpStoreAlgorithmE2EdEvPT3_,"axG",@progbits,_Z17warp_store_kernelILj256ELj8ELj64ELN6hipcub18WarpStoreAlgorithmE2EdEvPT3_,comdat
.Lfunc_end62:
	.size	_Z17warp_store_kernelILj256ELj8ELj64ELN6hipcub18WarpStoreAlgorithmE2EdEvPT3_, .Lfunc_end62-_Z17warp_store_kernelILj256ELj8ELj64ELN6hipcub18WarpStoreAlgorithmE2EdEvPT3_
                                        ; -- End function
	.set _Z17warp_store_kernelILj256ELj8ELj64ELN6hipcub18WarpStoreAlgorithmE2EdEvPT3_.num_vgpr, 8
	.set _Z17warp_store_kernelILj256ELj8ELj64ELN6hipcub18WarpStoreAlgorithmE2EdEvPT3_.num_agpr, 0
	.set _Z17warp_store_kernelILj256ELj8ELj64ELN6hipcub18WarpStoreAlgorithmE2EdEvPT3_.numbered_sgpr, 7
	.set _Z17warp_store_kernelILj256ELj8ELj64ELN6hipcub18WarpStoreAlgorithmE2EdEvPT3_.num_named_barrier, 0
	.set _Z17warp_store_kernelILj256ELj8ELj64ELN6hipcub18WarpStoreAlgorithmE2EdEvPT3_.private_seg_size, 0
	.set _Z17warp_store_kernelILj256ELj8ELj64ELN6hipcub18WarpStoreAlgorithmE2EdEvPT3_.uses_vcc, 1
	.set _Z17warp_store_kernelILj256ELj8ELj64ELN6hipcub18WarpStoreAlgorithmE2EdEvPT3_.uses_flat_scratch, 0
	.set _Z17warp_store_kernelILj256ELj8ELj64ELN6hipcub18WarpStoreAlgorithmE2EdEvPT3_.has_dyn_sized_stack, 0
	.set _Z17warp_store_kernelILj256ELj8ELj64ELN6hipcub18WarpStoreAlgorithmE2EdEvPT3_.has_recursion, 0
	.set _Z17warp_store_kernelILj256ELj8ELj64ELN6hipcub18WarpStoreAlgorithmE2EdEvPT3_.has_indirect_call, 0
	.section	.AMDGPU.csdata,"",@progbits
; Kernel info:
; codeLenInByte = 192
; TotalNumSgprs: 11
; NumVgprs: 8
; ScratchSize: 0
; MemoryBound: 1
; FloatMode: 240
; IeeeMode: 1
; LDSByteSize: 0 bytes/workgroup (compile time only)
; SGPRBlocks: 1
; VGPRBlocks: 1
; NumSGPRsForWavesPerEU: 11
; NumVGPRsForWavesPerEU: 8
; Occupancy: 10
; WaveLimiterHint : 1
; COMPUTE_PGM_RSRC2:SCRATCH_EN: 0
; COMPUTE_PGM_RSRC2:USER_SGPR: 6
; COMPUTE_PGM_RSRC2:TRAP_HANDLER: 0
; COMPUTE_PGM_RSRC2:TGID_X_EN: 1
; COMPUTE_PGM_RSRC2:TGID_Y_EN: 0
; COMPUTE_PGM_RSRC2:TGID_Z_EN: 0
; COMPUTE_PGM_RSRC2:TIDIG_COMP_CNT: 0
	.section	.text._Z17warp_store_kernelILj256ELj8ELj64ELN6hipcub18WarpStoreAlgorithmE3EdEvPT3_,"axG",@progbits,_Z17warp_store_kernelILj256ELj8ELj64ELN6hipcub18WarpStoreAlgorithmE3EdEvPT3_,comdat
	.protected	_Z17warp_store_kernelILj256ELj8ELj64ELN6hipcub18WarpStoreAlgorithmE3EdEvPT3_ ; -- Begin function _Z17warp_store_kernelILj256ELj8ELj64ELN6hipcub18WarpStoreAlgorithmE3EdEvPT3_
	.globl	_Z17warp_store_kernelILj256ELj8ELj64ELN6hipcub18WarpStoreAlgorithmE3EdEvPT3_
	.p2align	8
	.type	_Z17warp_store_kernelILj256ELj8ELj64ELN6hipcub18WarpStoreAlgorithmE3EdEvPT3_,@function
_Z17warp_store_kernelILj256ELj8ELj64ELN6hipcub18WarpStoreAlgorithmE3EdEvPT3_: ; @_Z17warp_store_kernelILj256ELj8ELj64ELN6hipcub18WarpStoreAlgorithmE3EdEvPT3_
; %bb.0:
	s_load_dwordx2 s[0:1], s[4:5], 0x0
	v_lshrrev_b32_e32 v0, 6, v0
	v_mbcnt_lo_u32_b32 v1, -1, 0
	s_lshl_b32 s2, s6, 11
	v_lshlrev_b32_e32 v6, 12, v0
	v_mbcnt_hi_u32_b32 v4, -1, v1
	v_lshl_or_b32 v0, v0, 9, s2
	v_mov_b32_e32 v1, 0
	v_lshlrev_b64 v[2:3], 3, v[0:1]
	s_waitcnt lgkmcnt(0)
	v_mov_b32_e32 v0, s1
	v_add_co_u32_e32 v16, vcc, s0, v2
	v_lshlrev_b32_e32 v19, 6, v4
	v_addc_co_u32_e32 v17, vcc, v0, v3, vcc
	v_add_u32_e32 v7, v6, v19
	v_mov_b32_e32 v3, 0x3ff00000
	v_mov_b32_e32 v0, v1
	;; [unrolled: 1-line block ×3, first 2 shown]
	v_lshlrev_b32_e32 v18, 3, v4
	ds_write_b128 v7, v[0:3]
	v_mov_b32_e32 v3, 2.0
	v_mov_b32_e32 v5, 0x40080000
	v_mov_b32_e32 v4, v1
	ds_write_b128 v7, v[2:5] offset:16
	v_mov_b32_e32 v3, 0x40100000
	v_mov_b32_e32 v5, 0x40140000
	ds_write_b128 v7, v[2:5] offset:32
	v_mov_b32_e32 v3, 0x40180000
	v_mov_b32_e32 v5, 0x401c0000
	v_or_b32_e32 v12, v6, v18
	ds_write_b128 v7, v[2:5] offset:48
	; wave barrier
	ds_read2st64_b64 v[0:3], v12 offset1:1
	ds_read2st64_b64 v[4:7], v12 offset0:2 offset1:3
	ds_read2st64_b64 v[8:11], v12 offset0:4 offset1:5
	;; [unrolled: 1-line block ×3, first 2 shown]
	v_add_co_u32_e32 v16, vcc, v16, v18
	v_addc_co_u32_e32 v17, vcc, 0, v17, vcc
	v_and_b32_e32 v18, 0x1000, v19
	v_add_co_u32_e32 v16, vcc, v16, v18
	v_addc_co_u32_e32 v17, vcc, 0, v17, vcc
	s_waitcnt lgkmcnt(3)
	global_store_dwordx2 v[16:17], v[0:1], off
	global_store_dwordx2 v[16:17], v[2:3], off offset:512
	s_waitcnt lgkmcnt(2)
	global_store_dwordx2 v[16:17], v[4:5], off offset:1024
	global_store_dwordx2 v[16:17], v[6:7], off offset:1536
	s_waitcnt lgkmcnt(1)
	global_store_dwordx2 v[16:17], v[8:9], off offset:2048
	global_store_dwordx2 v[16:17], v[10:11], off offset:2560
	s_waitcnt lgkmcnt(0)
	global_store_dwordx2 v[16:17], v[12:13], off offset:3072
	global_store_dwordx2 v[16:17], v[14:15], off offset:3584
	s_endpgm
	.section	.rodata,"a",@progbits
	.p2align	6, 0x0
	.amdhsa_kernel _Z17warp_store_kernelILj256ELj8ELj64ELN6hipcub18WarpStoreAlgorithmE3EdEvPT3_
		.amdhsa_group_segment_fixed_size 16384
		.amdhsa_private_segment_fixed_size 0
		.amdhsa_kernarg_size 8
		.amdhsa_user_sgpr_count 6
		.amdhsa_user_sgpr_private_segment_buffer 1
		.amdhsa_user_sgpr_dispatch_ptr 0
		.amdhsa_user_sgpr_queue_ptr 0
		.amdhsa_user_sgpr_kernarg_segment_ptr 1
		.amdhsa_user_sgpr_dispatch_id 0
		.amdhsa_user_sgpr_flat_scratch_init 0
		.amdhsa_user_sgpr_private_segment_size 0
		.amdhsa_uses_dynamic_stack 0
		.amdhsa_system_sgpr_private_segment_wavefront_offset 0
		.amdhsa_system_sgpr_workgroup_id_x 1
		.amdhsa_system_sgpr_workgroup_id_y 0
		.amdhsa_system_sgpr_workgroup_id_z 0
		.amdhsa_system_sgpr_workgroup_info 0
		.amdhsa_system_vgpr_workitem_id 0
		.amdhsa_next_free_vgpr 49
		.amdhsa_next_free_sgpr 98
		.amdhsa_reserve_vcc 1
		.amdhsa_reserve_flat_scratch 0
		.amdhsa_float_round_mode_32 0
		.amdhsa_float_round_mode_16_64 0
		.amdhsa_float_denorm_mode_32 3
		.amdhsa_float_denorm_mode_16_64 3
		.amdhsa_dx10_clamp 1
		.amdhsa_ieee_mode 1
		.amdhsa_fp16_overflow 0
		.amdhsa_exception_fp_ieee_invalid_op 0
		.amdhsa_exception_fp_denorm_src 0
		.amdhsa_exception_fp_ieee_div_zero 0
		.amdhsa_exception_fp_ieee_overflow 0
		.amdhsa_exception_fp_ieee_underflow 0
		.amdhsa_exception_fp_ieee_inexact 0
		.amdhsa_exception_int_div_zero 0
	.end_amdhsa_kernel
	.section	.text._Z17warp_store_kernelILj256ELj8ELj64ELN6hipcub18WarpStoreAlgorithmE3EdEvPT3_,"axG",@progbits,_Z17warp_store_kernelILj256ELj8ELj64ELN6hipcub18WarpStoreAlgorithmE3EdEvPT3_,comdat
.Lfunc_end63:
	.size	_Z17warp_store_kernelILj256ELj8ELj64ELN6hipcub18WarpStoreAlgorithmE3EdEvPT3_, .Lfunc_end63-_Z17warp_store_kernelILj256ELj8ELj64ELN6hipcub18WarpStoreAlgorithmE3EdEvPT3_
                                        ; -- End function
	.set _Z17warp_store_kernelILj256ELj8ELj64ELN6hipcub18WarpStoreAlgorithmE3EdEvPT3_.num_vgpr, 20
	.set _Z17warp_store_kernelILj256ELj8ELj64ELN6hipcub18WarpStoreAlgorithmE3EdEvPT3_.num_agpr, 0
	.set _Z17warp_store_kernelILj256ELj8ELj64ELN6hipcub18WarpStoreAlgorithmE3EdEvPT3_.numbered_sgpr, 7
	.set _Z17warp_store_kernelILj256ELj8ELj64ELN6hipcub18WarpStoreAlgorithmE3EdEvPT3_.num_named_barrier, 0
	.set _Z17warp_store_kernelILj256ELj8ELj64ELN6hipcub18WarpStoreAlgorithmE3EdEvPT3_.private_seg_size, 0
	.set _Z17warp_store_kernelILj256ELj8ELj64ELN6hipcub18WarpStoreAlgorithmE3EdEvPT3_.uses_vcc, 1
	.set _Z17warp_store_kernelILj256ELj8ELj64ELN6hipcub18WarpStoreAlgorithmE3EdEvPT3_.uses_flat_scratch, 0
	.set _Z17warp_store_kernelILj256ELj8ELj64ELN6hipcub18WarpStoreAlgorithmE3EdEvPT3_.has_dyn_sized_stack, 0
	.set _Z17warp_store_kernelILj256ELj8ELj64ELN6hipcub18WarpStoreAlgorithmE3EdEvPT3_.has_recursion, 0
	.set _Z17warp_store_kernelILj256ELj8ELj64ELN6hipcub18WarpStoreAlgorithmE3EdEvPT3_.has_indirect_call, 0
	.section	.AMDGPU.csdata,"",@progbits
; Kernel info:
; codeLenInByte = 324
; TotalNumSgprs: 11
; NumVgprs: 20
; ScratchSize: 0
; MemoryBound: 1
; FloatMode: 240
; IeeeMode: 1
; LDSByteSize: 16384 bytes/workgroup (compile time only)
; SGPRBlocks: 12
; VGPRBlocks: 12
; NumSGPRsForWavesPerEU: 102
; NumVGPRsForWavesPerEU: 49
; Occupancy: 4
; WaveLimiterHint : 1
; COMPUTE_PGM_RSRC2:SCRATCH_EN: 0
; COMPUTE_PGM_RSRC2:USER_SGPR: 6
; COMPUTE_PGM_RSRC2:TRAP_HANDLER: 0
; COMPUTE_PGM_RSRC2:TGID_X_EN: 1
; COMPUTE_PGM_RSRC2:TGID_Y_EN: 0
; COMPUTE_PGM_RSRC2:TGID_Z_EN: 0
; COMPUTE_PGM_RSRC2:TIDIG_COMP_CNT: 0
	.section	.text._Z17warp_store_kernelILj256ELj16ELj64ELN6hipcub18WarpStoreAlgorithmE0EdEvPT3_,"axG",@progbits,_Z17warp_store_kernelILj256ELj16ELj64ELN6hipcub18WarpStoreAlgorithmE0EdEvPT3_,comdat
	.protected	_Z17warp_store_kernelILj256ELj16ELj64ELN6hipcub18WarpStoreAlgorithmE0EdEvPT3_ ; -- Begin function _Z17warp_store_kernelILj256ELj16ELj64ELN6hipcub18WarpStoreAlgorithmE0EdEvPT3_
	.globl	_Z17warp_store_kernelILj256ELj16ELj64ELN6hipcub18WarpStoreAlgorithmE0EdEvPT3_
	.p2align	8
	.type	_Z17warp_store_kernelILj256ELj16ELj64ELN6hipcub18WarpStoreAlgorithmE0EdEvPT3_,@function
_Z17warp_store_kernelILj256ELj16ELj64ELN6hipcub18WarpStoreAlgorithmE0EdEvPT3_: ; @_Z17warp_store_kernelILj256ELj16ELj64ELN6hipcub18WarpStoreAlgorithmE0EdEvPT3_
; %bb.0:
	s_load_dwordx2 s[0:1], s[4:5], 0x0
	v_lshlrev_b32_e32 v0, 4, v0
	v_mbcnt_lo_u32_b32 v1, -1, 0
	v_and_b32_e32 v0, 0xc00, v0
	v_mbcnt_hi_u32_b32 v4, -1, v1
	v_lshl_or_b32 v0, s6, 12, v0
	v_mov_b32_e32 v1, 0
	v_lshlrev_b64 v[2:3], 3, v[0:1]
	s_waitcnt lgkmcnt(0)
	v_mov_b32_e32 v0, s1
	v_add_co_u32_e32 v2, vcc, s0, v2
	v_addc_co_u32_e32 v0, vcc, v0, v3, vcc
	v_lshlrev_b32_e32 v3, 7, v4
	v_add_co_u32_e32 v6, vcc, v2, v3
	v_addc_co_u32_e32 v7, vcc, 0, v0, vcc
	v_mov_b32_e32 v3, 0x3ff00000
	v_mov_b32_e32 v0, v1
	;; [unrolled: 1-line block ×3, first 2 shown]
	global_store_dwordx4 v[6:7], v[0:3], off
	v_mov_b32_e32 v5, 0x40080000
	v_mov_b32_e32 v3, 2.0
	v_mov_b32_e32 v4, v1
	global_store_dwordx4 v[6:7], v[2:5], off offset:16
	s_nop 0
	v_mov_b32_e32 v3, 0x40100000
	v_mov_b32_e32 v5, 0x40140000
	global_store_dwordx4 v[6:7], v[2:5], off offset:32
	s_nop 0
	v_mov_b32_e32 v3, 0x40180000
	;; [unrolled: 4-line block ×6, first 2 shown]
	v_mov_b32_e32 v5, 0x402e0000
	global_store_dwordx4 v[6:7], v[2:5], off offset:112
	s_endpgm
	.section	.rodata,"a",@progbits
	.p2align	6, 0x0
	.amdhsa_kernel _Z17warp_store_kernelILj256ELj16ELj64ELN6hipcub18WarpStoreAlgorithmE0EdEvPT3_
		.amdhsa_group_segment_fixed_size 0
		.amdhsa_private_segment_fixed_size 0
		.amdhsa_kernarg_size 8
		.amdhsa_user_sgpr_count 6
		.amdhsa_user_sgpr_private_segment_buffer 1
		.amdhsa_user_sgpr_dispatch_ptr 0
		.amdhsa_user_sgpr_queue_ptr 0
		.amdhsa_user_sgpr_kernarg_segment_ptr 1
		.amdhsa_user_sgpr_dispatch_id 0
		.amdhsa_user_sgpr_flat_scratch_init 0
		.amdhsa_user_sgpr_private_segment_size 0
		.amdhsa_uses_dynamic_stack 0
		.amdhsa_system_sgpr_private_segment_wavefront_offset 0
		.amdhsa_system_sgpr_workgroup_id_x 1
		.amdhsa_system_sgpr_workgroup_id_y 0
		.amdhsa_system_sgpr_workgroup_id_z 0
		.amdhsa_system_sgpr_workgroup_info 0
		.amdhsa_system_vgpr_workitem_id 0
		.amdhsa_next_free_vgpr 8
		.amdhsa_next_free_sgpr 7
		.amdhsa_reserve_vcc 1
		.amdhsa_reserve_flat_scratch 0
		.amdhsa_float_round_mode_32 0
		.amdhsa_float_round_mode_16_64 0
		.amdhsa_float_denorm_mode_32 3
		.amdhsa_float_denorm_mode_16_64 3
		.amdhsa_dx10_clamp 1
		.amdhsa_ieee_mode 1
		.amdhsa_fp16_overflow 0
		.amdhsa_exception_fp_ieee_invalid_op 0
		.amdhsa_exception_fp_denorm_src 0
		.amdhsa_exception_fp_ieee_div_zero 0
		.amdhsa_exception_fp_ieee_overflow 0
		.amdhsa_exception_fp_ieee_underflow 0
		.amdhsa_exception_fp_ieee_inexact 0
		.amdhsa_exception_int_div_zero 0
	.end_amdhsa_kernel
	.section	.text._Z17warp_store_kernelILj256ELj16ELj64ELN6hipcub18WarpStoreAlgorithmE0EdEvPT3_,"axG",@progbits,_Z17warp_store_kernelILj256ELj16ELj64ELN6hipcub18WarpStoreAlgorithmE0EdEvPT3_,comdat
.Lfunc_end64:
	.size	_Z17warp_store_kernelILj256ELj16ELj64ELN6hipcub18WarpStoreAlgorithmE0EdEvPT3_, .Lfunc_end64-_Z17warp_store_kernelILj256ELj16ELj64ELN6hipcub18WarpStoreAlgorithmE0EdEvPT3_
                                        ; -- End function
	.set _Z17warp_store_kernelILj256ELj16ELj64ELN6hipcub18WarpStoreAlgorithmE0EdEvPT3_.num_vgpr, 8
	.set _Z17warp_store_kernelILj256ELj16ELj64ELN6hipcub18WarpStoreAlgorithmE0EdEvPT3_.num_agpr, 0
	.set _Z17warp_store_kernelILj256ELj16ELj64ELN6hipcub18WarpStoreAlgorithmE0EdEvPT3_.numbered_sgpr, 7
	.set _Z17warp_store_kernelILj256ELj16ELj64ELN6hipcub18WarpStoreAlgorithmE0EdEvPT3_.num_named_barrier, 0
	.set _Z17warp_store_kernelILj256ELj16ELj64ELN6hipcub18WarpStoreAlgorithmE0EdEvPT3_.private_seg_size, 0
	.set _Z17warp_store_kernelILj256ELj16ELj64ELN6hipcub18WarpStoreAlgorithmE0EdEvPT3_.uses_vcc, 1
	.set _Z17warp_store_kernelILj256ELj16ELj64ELN6hipcub18WarpStoreAlgorithmE0EdEvPT3_.uses_flat_scratch, 0
	.set _Z17warp_store_kernelILj256ELj16ELj64ELN6hipcub18WarpStoreAlgorithmE0EdEvPT3_.has_dyn_sized_stack, 0
	.set _Z17warp_store_kernelILj256ELj16ELj64ELN6hipcub18WarpStoreAlgorithmE0EdEvPT3_.has_recursion, 0
	.set _Z17warp_store_kernelILj256ELj16ELj64ELN6hipcub18WarpStoreAlgorithmE0EdEvPT3_.has_indirect_call, 0
	.section	.AMDGPU.csdata,"",@progbits
; Kernel info:
; codeLenInByte = 304
; TotalNumSgprs: 11
; NumVgprs: 8
; ScratchSize: 0
; MemoryBound: 1
; FloatMode: 240
; IeeeMode: 1
; LDSByteSize: 0 bytes/workgroup (compile time only)
; SGPRBlocks: 1
; VGPRBlocks: 1
; NumSGPRsForWavesPerEU: 11
; NumVGPRsForWavesPerEU: 8
; Occupancy: 10
; WaveLimiterHint : 1
; COMPUTE_PGM_RSRC2:SCRATCH_EN: 0
; COMPUTE_PGM_RSRC2:USER_SGPR: 6
; COMPUTE_PGM_RSRC2:TRAP_HANDLER: 0
; COMPUTE_PGM_RSRC2:TGID_X_EN: 1
; COMPUTE_PGM_RSRC2:TGID_Y_EN: 0
; COMPUTE_PGM_RSRC2:TGID_Z_EN: 0
; COMPUTE_PGM_RSRC2:TIDIG_COMP_CNT: 0
	.section	.text._Z17warp_store_kernelILj256ELj16ELj64ELN6hipcub18WarpStoreAlgorithmE1EdEvPT3_,"axG",@progbits,_Z17warp_store_kernelILj256ELj16ELj64ELN6hipcub18WarpStoreAlgorithmE1EdEvPT3_,comdat
	.protected	_Z17warp_store_kernelILj256ELj16ELj64ELN6hipcub18WarpStoreAlgorithmE1EdEvPT3_ ; -- Begin function _Z17warp_store_kernelILj256ELj16ELj64ELN6hipcub18WarpStoreAlgorithmE1EdEvPT3_
	.globl	_Z17warp_store_kernelILj256ELj16ELj64ELN6hipcub18WarpStoreAlgorithmE1EdEvPT3_
	.p2align	8
	.type	_Z17warp_store_kernelILj256ELj16ELj64ELN6hipcub18WarpStoreAlgorithmE1EdEvPT3_,@function
_Z17warp_store_kernelILj256ELj16ELj64ELN6hipcub18WarpStoreAlgorithmE1EdEvPT3_: ; @_Z17warp_store_kernelILj256ELj16ELj64ELN6hipcub18WarpStoreAlgorithmE1EdEvPT3_
; %bb.0:
	s_load_dwordx2 s[0:1], s[4:5], 0x0
	v_lshlrev_b32_e32 v0, 4, v0
	v_mbcnt_lo_u32_b32 v1, -1, 0
	v_and_b32_e32 v0, 0xc00, v0
	v_mbcnt_hi_u32_b32 v4, -1, v1
	v_lshl_or_b32 v0, s6, 12, v0
	v_mov_b32_e32 v1, 0
	v_lshlrev_b64 v[2:3], 3, v[0:1]
	s_waitcnt lgkmcnt(0)
	v_mov_b32_e32 v0, s1
	v_add_co_u32_e32 v2, vcc, s0, v2
	v_addc_co_u32_e32 v0, vcc, v0, v3, vcc
	v_lshlrev_b32_e32 v3, 3, v4
	v_add_co_u32_e32 v2, vcc, v2, v3
	v_lshlrev_b32_e32 v3, 7, v4
	v_addc_co_u32_e32 v0, vcc, 0, v0, vcc
	v_and_b32_e32 v3, 0x2000, v3
	v_add_co_u32_e32 v2, vcc, v2, v3
	v_addc_co_u32_e32 v3, vcc, 0, v0, vcc
	v_mov_b32_e32 v5, 0x3ff00000
	v_mov_b32_e32 v4, v1
	global_store_dwordx2 v[2:3], v[4:5], off offset:512
	v_mov_b32_e32 v5, 2.0
	global_store_dwordx2 v[2:3], v[4:5], off offset:1024
	v_mov_b32_e32 v5, 0x40080000
	global_store_dwordx2 v[2:3], v[4:5], off offset:1536
	v_mov_b32_e32 v5, 0x40100000
	;; [unrolled: 2-line block ×4, first 2 shown]
	v_mov_b32_e32 v0, v1
	global_store_dwordx2 v[2:3], v[4:5], off offset:3072
	v_mov_b32_e32 v5, 0x401c0000
	s_movk_i32 s0, 0x1000
	global_store_dwordx2 v[2:3], v[0:1], off
	global_store_dwordx2 v[2:3], v[4:5], off offset:3584
	v_add_co_u32_e32 v2, vcc, s0, v2
	v_addc_co_u32_e32 v3, vcc, 0, v3, vcc
	v_mov_b32_e32 v5, 0x40200000
	global_store_dwordx2 v[2:3], v[4:5], off
	v_mov_b32_e32 v5, 0x40220000
	global_store_dwordx2 v[2:3], v[4:5], off offset:512
	v_mov_b32_e32 v5, 0x40240000
	global_store_dwordx2 v[2:3], v[4:5], off offset:1024
	;; [unrolled: 2-line block ×7, first 2 shown]
	s_endpgm
	.section	.rodata,"a",@progbits
	.p2align	6, 0x0
	.amdhsa_kernel _Z17warp_store_kernelILj256ELj16ELj64ELN6hipcub18WarpStoreAlgorithmE1EdEvPT3_
		.amdhsa_group_segment_fixed_size 0
		.amdhsa_private_segment_fixed_size 0
		.amdhsa_kernarg_size 8
		.amdhsa_user_sgpr_count 6
		.amdhsa_user_sgpr_private_segment_buffer 1
		.amdhsa_user_sgpr_dispatch_ptr 0
		.amdhsa_user_sgpr_queue_ptr 0
		.amdhsa_user_sgpr_kernarg_segment_ptr 1
		.amdhsa_user_sgpr_dispatch_id 0
		.amdhsa_user_sgpr_flat_scratch_init 0
		.amdhsa_user_sgpr_private_segment_size 0
		.amdhsa_uses_dynamic_stack 0
		.amdhsa_system_sgpr_private_segment_wavefront_offset 0
		.amdhsa_system_sgpr_workgroup_id_x 1
		.amdhsa_system_sgpr_workgroup_id_y 0
		.amdhsa_system_sgpr_workgroup_id_z 0
		.amdhsa_system_sgpr_workgroup_info 0
		.amdhsa_system_vgpr_workitem_id 0
		.amdhsa_next_free_vgpr 6
		.amdhsa_next_free_sgpr 7
		.amdhsa_reserve_vcc 1
		.amdhsa_reserve_flat_scratch 0
		.amdhsa_float_round_mode_32 0
		.amdhsa_float_round_mode_16_64 0
		.amdhsa_float_denorm_mode_32 3
		.amdhsa_float_denorm_mode_16_64 3
		.amdhsa_dx10_clamp 1
		.amdhsa_ieee_mode 1
		.amdhsa_fp16_overflow 0
		.amdhsa_exception_fp_ieee_invalid_op 0
		.amdhsa_exception_fp_denorm_src 0
		.amdhsa_exception_fp_ieee_div_zero 0
		.amdhsa_exception_fp_ieee_overflow 0
		.amdhsa_exception_fp_ieee_underflow 0
		.amdhsa_exception_fp_ieee_inexact 0
		.amdhsa_exception_int_div_zero 0
	.end_amdhsa_kernel
	.section	.text._Z17warp_store_kernelILj256ELj16ELj64ELN6hipcub18WarpStoreAlgorithmE1EdEvPT3_,"axG",@progbits,_Z17warp_store_kernelILj256ELj16ELj64ELN6hipcub18WarpStoreAlgorithmE1EdEvPT3_,comdat
.Lfunc_end65:
	.size	_Z17warp_store_kernelILj256ELj16ELj64ELN6hipcub18WarpStoreAlgorithmE1EdEvPT3_, .Lfunc_end65-_Z17warp_store_kernelILj256ELj16ELj64ELN6hipcub18WarpStoreAlgorithmE1EdEvPT3_
                                        ; -- End function
	.set _Z17warp_store_kernelILj256ELj16ELj64ELN6hipcub18WarpStoreAlgorithmE1EdEvPT3_.num_vgpr, 6
	.set _Z17warp_store_kernelILj256ELj16ELj64ELN6hipcub18WarpStoreAlgorithmE1EdEvPT3_.num_agpr, 0
	.set _Z17warp_store_kernelILj256ELj16ELj64ELN6hipcub18WarpStoreAlgorithmE1EdEvPT3_.numbered_sgpr, 7
	.set _Z17warp_store_kernelILj256ELj16ELj64ELN6hipcub18WarpStoreAlgorithmE1EdEvPT3_.num_named_barrier, 0
	.set _Z17warp_store_kernelILj256ELj16ELj64ELN6hipcub18WarpStoreAlgorithmE1EdEvPT3_.private_seg_size, 0
	.set _Z17warp_store_kernelILj256ELj16ELj64ELN6hipcub18WarpStoreAlgorithmE1EdEvPT3_.uses_vcc, 1
	.set _Z17warp_store_kernelILj256ELj16ELj64ELN6hipcub18WarpStoreAlgorithmE1EdEvPT3_.uses_flat_scratch, 0
	.set _Z17warp_store_kernelILj256ELj16ELj64ELN6hipcub18WarpStoreAlgorithmE1EdEvPT3_.has_dyn_sized_stack, 0
	.set _Z17warp_store_kernelILj256ELj16ELj64ELN6hipcub18WarpStoreAlgorithmE1EdEvPT3_.has_recursion, 0
	.set _Z17warp_store_kernelILj256ELj16ELj64ELN6hipcub18WarpStoreAlgorithmE1EdEvPT3_.has_indirect_call, 0
	.section	.AMDGPU.csdata,"",@progbits
; Kernel info:
; codeLenInByte = 372
; TotalNumSgprs: 11
; NumVgprs: 6
; ScratchSize: 0
; MemoryBound: 1
; FloatMode: 240
; IeeeMode: 1
; LDSByteSize: 0 bytes/workgroup (compile time only)
; SGPRBlocks: 1
; VGPRBlocks: 1
; NumSGPRsForWavesPerEU: 11
; NumVGPRsForWavesPerEU: 6
; Occupancy: 10
; WaveLimiterHint : 1
; COMPUTE_PGM_RSRC2:SCRATCH_EN: 0
; COMPUTE_PGM_RSRC2:USER_SGPR: 6
; COMPUTE_PGM_RSRC2:TRAP_HANDLER: 0
; COMPUTE_PGM_RSRC2:TGID_X_EN: 1
; COMPUTE_PGM_RSRC2:TGID_Y_EN: 0
; COMPUTE_PGM_RSRC2:TGID_Z_EN: 0
; COMPUTE_PGM_RSRC2:TIDIG_COMP_CNT: 0
	.section	.text._Z17warp_store_kernelILj256ELj16ELj64ELN6hipcub18WarpStoreAlgorithmE2EdEvPT3_,"axG",@progbits,_Z17warp_store_kernelILj256ELj16ELj64ELN6hipcub18WarpStoreAlgorithmE2EdEvPT3_,comdat
	.protected	_Z17warp_store_kernelILj256ELj16ELj64ELN6hipcub18WarpStoreAlgorithmE2EdEvPT3_ ; -- Begin function _Z17warp_store_kernelILj256ELj16ELj64ELN6hipcub18WarpStoreAlgorithmE2EdEvPT3_
	.globl	_Z17warp_store_kernelILj256ELj16ELj64ELN6hipcub18WarpStoreAlgorithmE2EdEvPT3_
	.p2align	8
	.type	_Z17warp_store_kernelILj256ELj16ELj64ELN6hipcub18WarpStoreAlgorithmE2EdEvPT3_,@function
_Z17warp_store_kernelILj256ELj16ELj64ELN6hipcub18WarpStoreAlgorithmE2EdEvPT3_: ; @_Z17warp_store_kernelILj256ELj16ELj64ELN6hipcub18WarpStoreAlgorithmE2EdEvPT3_
; %bb.0:
	s_load_dwordx2 s[0:1], s[4:5], 0x0
	v_lshlrev_b32_e32 v0, 4, v0
	v_mbcnt_lo_u32_b32 v1, -1, 0
	v_and_b32_e32 v0, 0xc00, v0
	v_mbcnt_hi_u32_b32 v4, -1, v1
	v_lshl_or_b32 v0, s6, 12, v0
	v_mov_b32_e32 v1, 0
	v_lshlrev_b64 v[2:3], 3, v[0:1]
	s_waitcnt lgkmcnt(0)
	v_mov_b32_e32 v0, s1
	v_add_co_u32_e32 v2, vcc, s0, v2
	v_addc_co_u32_e32 v0, vcc, v0, v3, vcc
	v_lshlrev_b32_e32 v3, 7, v4
	v_add_co_u32_e32 v6, vcc, v2, v3
	v_addc_co_u32_e32 v7, vcc, 0, v0, vcc
	v_mov_b32_e32 v3, 0x3ff00000
	v_mov_b32_e32 v0, v1
	v_mov_b32_e32 v2, v1
	global_store_dwordx4 v[6:7], v[0:3], off
	v_mov_b32_e32 v5, 0x40080000
	v_mov_b32_e32 v3, 2.0
	v_mov_b32_e32 v4, v1
	global_store_dwordx4 v[6:7], v[2:5], off offset:16
	s_nop 0
	v_mov_b32_e32 v3, 0x40100000
	v_mov_b32_e32 v5, 0x40140000
	global_store_dwordx4 v[6:7], v[2:5], off offset:32
	s_nop 0
	v_mov_b32_e32 v3, 0x40180000
	;; [unrolled: 4-line block ×6, first 2 shown]
	v_mov_b32_e32 v5, 0x402e0000
	global_store_dwordx4 v[6:7], v[2:5], off offset:112
	s_endpgm
	.section	.rodata,"a",@progbits
	.p2align	6, 0x0
	.amdhsa_kernel _Z17warp_store_kernelILj256ELj16ELj64ELN6hipcub18WarpStoreAlgorithmE2EdEvPT3_
		.amdhsa_group_segment_fixed_size 0
		.amdhsa_private_segment_fixed_size 0
		.amdhsa_kernarg_size 8
		.amdhsa_user_sgpr_count 6
		.amdhsa_user_sgpr_private_segment_buffer 1
		.amdhsa_user_sgpr_dispatch_ptr 0
		.amdhsa_user_sgpr_queue_ptr 0
		.amdhsa_user_sgpr_kernarg_segment_ptr 1
		.amdhsa_user_sgpr_dispatch_id 0
		.amdhsa_user_sgpr_flat_scratch_init 0
		.amdhsa_user_sgpr_private_segment_size 0
		.amdhsa_uses_dynamic_stack 0
		.amdhsa_system_sgpr_private_segment_wavefront_offset 0
		.amdhsa_system_sgpr_workgroup_id_x 1
		.amdhsa_system_sgpr_workgroup_id_y 0
		.amdhsa_system_sgpr_workgroup_id_z 0
		.amdhsa_system_sgpr_workgroup_info 0
		.amdhsa_system_vgpr_workitem_id 0
		.amdhsa_next_free_vgpr 8
		.amdhsa_next_free_sgpr 7
		.amdhsa_reserve_vcc 1
		.amdhsa_reserve_flat_scratch 0
		.amdhsa_float_round_mode_32 0
		.amdhsa_float_round_mode_16_64 0
		.amdhsa_float_denorm_mode_32 3
		.amdhsa_float_denorm_mode_16_64 3
		.amdhsa_dx10_clamp 1
		.amdhsa_ieee_mode 1
		.amdhsa_fp16_overflow 0
		.amdhsa_exception_fp_ieee_invalid_op 0
		.amdhsa_exception_fp_denorm_src 0
		.amdhsa_exception_fp_ieee_div_zero 0
		.amdhsa_exception_fp_ieee_overflow 0
		.amdhsa_exception_fp_ieee_underflow 0
		.amdhsa_exception_fp_ieee_inexact 0
		.amdhsa_exception_int_div_zero 0
	.end_amdhsa_kernel
	.section	.text._Z17warp_store_kernelILj256ELj16ELj64ELN6hipcub18WarpStoreAlgorithmE2EdEvPT3_,"axG",@progbits,_Z17warp_store_kernelILj256ELj16ELj64ELN6hipcub18WarpStoreAlgorithmE2EdEvPT3_,comdat
.Lfunc_end66:
	.size	_Z17warp_store_kernelILj256ELj16ELj64ELN6hipcub18WarpStoreAlgorithmE2EdEvPT3_, .Lfunc_end66-_Z17warp_store_kernelILj256ELj16ELj64ELN6hipcub18WarpStoreAlgorithmE2EdEvPT3_
                                        ; -- End function
	.set _Z17warp_store_kernelILj256ELj16ELj64ELN6hipcub18WarpStoreAlgorithmE2EdEvPT3_.num_vgpr, 8
	.set _Z17warp_store_kernelILj256ELj16ELj64ELN6hipcub18WarpStoreAlgorithmE2EdEvPT3_.num_agpr, 0
	.set _Z17warp_store_kernelILj256ELj16ELj64ELN6hipcub18WarpStoreAlgorithmE2EdEvPT3_.numbered_sgpr, 7
	.set _Z17warp_store_kernelILj256ELj16ELj64ELN6hipcub18WarpStoreAlgorithmE2EdEvPT3_.num_named_barrier, 0
	.set _Z17warp_store_kernelILj256ELj16ELj64ELN6hipcub18WarpStoreAlgorithmE2EdEvPT3_.private_seg_size, 0
	.set _Z17warp_store_kernelILj256ELj16ELj64ELN6hipcub18WarpStoreAlgorithmE2EdEvPT3_.uses_vcc, 1
	.set _Z17warp_store_kernelILj256ELj16ELj64ELN6hipcub18WarpStoreAlgorithmE2EdEvPT3_.uses_flat_scratch, 0
	.set _Z17warp_store_kernelILj256ELj16ELj64ELN6hipcub18WarpStoreAlgorithmE2EdEvPT3_.has_dyn_sized_stack, 0
	.set _Z17warp_store_kernelILj256ELj16ELj64ELN6hipcub18WarpStoreAlgorithmE2EdEvPT3_.has_recursion, 0
	.set _Z17warp_store_kernelILj256ELj16ELj64ELN6hipcub18WarpStoreAlgorithmE2EdEvPT3_.has_indirect_call, 0
	.section	.AMDGPU.csdata,"",@progbits
; Kernel info:
; codeLenInByte = 304
; TotalNumSgprs: 11
; NumVgprs: 8
; ScratchSize: 0
; MemoryBound: 1
; FloatMode: 240
; IeeeMode: 1
; LDSByteSize: 0 bytes/workgroup (compile time only)
; SGPRBlocks: 1
; VGPRBlocks: 1
; NumSGPRsForWavesPerEU: 11
; NumVGPRsForWavesPerEU: 8
; Occupancy: 10
; WaveLimiterHint : 1
; COMPUTE_PGM_RSRC2:SCRATCH_EN: 0
; COMPUTE_PGM_RSRC2:USER_SGPR: 6
; COMPUTE_PGM_RSRC2:TRAP_HANDLER: 0
; COMPUTE_PGM_RSRC2:TGID_X_EN: 1
; COMPUTE_PGM_RSRC2:TGID_Y_EN: 0
; COMPUTE_PGM_RSRC2:TGID_Z_EN: 0
; COMPUTE_PGM_RSRC2:TIDIG_COMP_CNT: 0
	.section	.text._Z17warp_store_kernelILj256ELj32ELj64ELN6hipcub18WarpStoreAlgorithmE0EdEvPT3_,"axG",@progbits,_Z17warp_store_kernelILj256ELj32ELj64ELN6hipcub18WarpStoreAlgorithmE0EdEvPT3_,comdat
	.protected	_Z17warp_store_kernelILj256ELj32ELj64ELN6hipcub18WarpStoreAlgorithmE0EdEvPT3_ ; -- Begin function _Z17warp_store_kernelILj256ELj32ELj64ELN6hipcub18WarpStoreAlgorithmE0EdEvPT3_
	.globl	_Z17warp_store_kernelILj256ELj32ELj64ELN6hipcub18WarpStoreAlgorithmE0EdEvPT3_
	.p2align	8
	.type	_Z17warp_store_kernelILj256ELj32ELj64ELN6hipcub18WarpStoreAlgorithmE0EdEvPT3_,@function
_Z17warp_store_kernelILj256ELj32ELj64ELN6hipcub18WarpStoreAlgorithmE0EdEvPT3_: ; @_Z17warp_store_kernelILj256ELj32ELj64ELN6hipcub18WarpStoreAlgorithmE0EdEvPT3_
; %bb.0:
	s_load_dwordx2 s[0:1], s[4:5], 0x0
	v_lshlrev_b32_e32 v0, 5, v0
	v_mbcnt_lo_u32_b32 v1, -1, 0
	v_and_b32_e32 v0, 0x1800, v0
	v_mbcnt_hi_u32_b32 v4, -1, v1
	v_lshl_or_b32 v0, s6, 13, v0
	v_mov_b32_e32 v1, 0
	v_lshlrev_b64 v[2:3], 3, v[0:1]
	s_waitcnt lgkmcnt(0)
	v_mov_b32_e32 v0, s1
	v_add_co_u32_e32 v2, vcc, s0, v2
	v_addc_co_u32_e32 v0, vcc, v0, v3, vcc
	v_lshlrev_b32_e32 v3, 8, v4
	v_add_co_u32_e32 v6, vcc, v2, v3
	v_addc_co_u32_e32 v7, vcc, 0, v0, vcc
	v_mov_b32_e32 v3, 0x3ff00000
	v_mov_b32_e32 v0, v1
	;; [unrolled: 1-line block ×3, first 2 shown]
	global_store_dwordx4 v[6:7], v[0:3], off
	v_mov_b32_e32 v5, 0x40080000
	v_mov_b32_e32 v3, 2.0
	v_mov_b32_e32 v4, v1
	global_store_dwordx4 v[6:7], v[2:5], off offset:16
	s_nop 0
	v_mov_b32_e32 v3, 0x40100000
	v_mov_b32_e32 v5, 0x40140000
	global_store_dwordx4 v[6:7], v[2:5], off offset:32
	s_nop 0
	v_mov_b32_e32 v3, 0x40180000
	;; [unrolled: 4-line block ×14, first 2 shown]
	v_mov_b32_e32 v5, 0x403f0000
	global_store_dwordx4 v[6:7], v[2:5], off offset:240
	s_endpgm
	.section	.rodata,"a",@progbits
	.p2align	6, 0x0
	.amdhsa_kernel _Z17warp_store_kernelILj256ELj32ELj64ELN6hipcub18WarpStoreAlgorithmE0EdEvPT3_
		.amdhsa_group_segment_fixed_size 0
		.amdhsa_private_segment_fixed_size 0
		.amdhsa_kernarg_size 8
		.amdhsa_user_sgpr_count 6
		.amdhsa_user_sgpr_private_segment_buffer 1
		.amdhsa_user_sgpr_dispatch_ptr 0
		.amdhsa_user_sgpr_queue_ptr 0
		.amdhsa_user_sgpr_kernarg_segment_ptr 1
		.amdhsa_user_sgpr_dispatch_id 0
		.amdhsa_user_sgpr_flat_scratch_init 0
		.amdhsa_user_sgpr_private_segment_size 0
		.amdhsa_uses_dynamic_stack 0
		.amdhsa_system_sgpr_private_segment_wavefront_offset 0
		.amdhsa_system_sgpr_workgroup_id_x 1
		.amdhsa_system_sgpr_workgroup_id_y 0
		.amdhsa_system_sgpr_workgroup_id_z 0
		.amdhsa_system_sgpr_workgroup_info 0
		.amdhsa_system_vgpr_workitem_id 0
		.amdhsa_next_free_vgpr 8
		.amdhsa_next_free_sgpr 7
		.amdhsa_reserve_vcc 1
		.amdhsa_reserve_flat_scratch 0
		.amdhsa_float_round_mode_32 0
		.amdhsa_float_round_mode_16_64 0
		.amdhsa_float_denorm_mode_32 3
		.amdhsa_float_denorm_mode_16_64 3
		.amdhsa_dx10_clamp 1
		.amdhsa_ieee_mode 1
		.amdhsa_fp16_overflow 0
		.amdhsa_exception_fp_ieee_invalid_op 0
		.amdhsa_exception_fp_denorm_src 0
		.amdhsa_exception_fp_ieee_div_zero 0
		.amdhsa_exception_fp_ieee_overflow 0
		.amdhsa_exception_fp_ieee_underflow 0
		.amdhsa_exception_fp_ieee_inexact 0
		.amdhsa_exception_int_div_zero 0
	.end_amdhsa_kernel
	.section	.text._Z17warp_store_kernelILj256ELj32ELj64ELN6hipcub18WarpStoreAlgorithmE0EdEvPT3_,"axG",@progbits,_Z17warp_store_kernelILj256ELj32ELj64ELN6hipcub18WarpStoreAlgorithmE0EdEvPT3_,comdat
.Lfunc_end67:
	.size	_Z17warp_store_kernelILj256ELj32ELj64ELN6hipcub18WarpStoreAlgorithmE0EdEvPT3_, .Lfunc_end67-_Z17warp_store_kernelILj256ELj32ELj64ELN6hipcub18WarpStoreAlgorithmE0EdEvPT3_
                                        ; -- End function
	.set _Z17warp_store_kernelILj256ELj32ELj64ELN6hipcub18WarpStoreAlgorithmE0EdEvPT3_.num_vgpr, 8
	.set _Z17warp_store_kernelILj256ELj32ELj64ELN6hipcub18WarpStoreAlgorithmE0EdEvPT3_.num_agpr, 0
	.set _Z17warp_store_kernelILj256ELj32ELj64ELN6hipcub18WarpStoreAlgorithmE0EdEvPT3_.numbered_sgpr, 7
	.set _Z17warp_store_kernelILj256ELj32ELj64ELN6hipcub18WarpStoreAlgorithmE0EdEvPT3_.num_named_barrier, 0
	.set _Z17warp_store_kernelILj256ELj32ELj64ELN6hipcub18WarpStoreAlgorithmE0EdEvPT3_.private_seg_size, 0
	.set _Z17warp_store_kernelILj256ELj32ELj64ELN6hipcub18WarpStoreAlgorithmE0EdEvPT3_.uses_vcc, 1
	.set _Z17warp_store_kernelILj256ELj32ELj64ELN6hipcub18WarpStoreAlgorithmE0EdEvPT3_.uses_flat_scratch, 0
	.set _Z17warp_store_kernelILj256ELj32ELj64ELN6hipcub18WarpStoreAlgorithmE0EdEvPT3_.has_dyn_sized_stack, 0
	.set _Z17warp_store_kernelILj256ELj32ELj64ELN6hipcub18WarpStoreAlgorithmE0EdEvPT3_.has_recursion, 0
	.set _Z17warp_store_kernelILj256ELj32ELj64ELN6hipcub18WarpStoreAlgorithmE0EdEvPT3_.has_indirect_call, 0
	.section	.AMDGPU.csdata,"",@progbits
; Kernel info:
; codeLenInByte = 528
; TotalNumSgprs: 11
; NumVgprs: 8
; ScratchSize: 0
; MemoryBound: 1
; FloatMode: 240
; IeeeMode: 1
; LDSByteSize: 0 bytes/workgroup (compile time only)
; SGPRBlocks: 1
; VGPRBlocks: 1
; NumSGPRsForWavesPerEU: 11
; NumVGPRsForWavesPerEU: 8
; Occupancy: 10
; WaveLimiterHint : 1
; COMPUTE_PGM_RSRC2:SCRATCH_EN: 0
; COMPUTE_PGM_RSRC2:USER_SGPR: 6
; COMPUTE_PGM_RSRC2:TRAP_HANDLER: 0
; COMPUTE_PGM_RSRC2:TGID_X_EN: 1
; COMPUTE_PGM_RSRC2:TGID_Y_EN: 0
; COMPUTE_PGM_RSRC2:TGID_Z_EN: 0
; COMPUTE_PGM_RSRC2:TIDIG_COMP_CNT: 0
	.section	.text._Z17warp_store_kernelILj256ELj32ELj64ELN6hipcub18WarpStoreAlgorithmE1EdEvPT3_,"axG",@progbits,_Z17warp_store_kernelILj256ELj32ELj64ELN6hipcub18WarpStoreAlgorithmE1EdEvPT3_,comdat
	.protected	_Z17warp_store_kernelILj256ELj32ELj64ELN6hipcub18WarpStoreAlgorithmE1EdEvPT3_ ; -- Begin function _Z17warp_store_kernelILj256ELj32ELj64ELN6hipcub18WarpStoreAlgorithmE1EdEvPT3_
	.globl	_Z17warp_store_kernelILj256ELj32ELj64ELN6hipcub18WarpStoreAlgorithmE1EdEvPT3_
	.p2align	8
	.type	_Z17warp_store_kernelILj256ELj32ELj64ELN6hipcub18WarpStoreAlgorithmE1EdEvPT3_,@function
_Z17warp_store_kernelILj256ELj32ELj64ELN6hipcub18WarpStoreAlgorithmE1EdEvPT3_: ; @_Z17warp_store_kernelILj256ELj32ELj64ELN6hipcub18WarpStoreAlgorithmE1EdEvPT3_
; %bb.0:
	s_load_dwordx2 s[0:1], s[4:5], 0x0
	v_lshlrev_b32_e32 v0, 5, v0
	v_mbcnt_lo_u32_b32 v1, -1, 0
	v_and_b32_e32 v0, 0x1800, v0
	v_mbcnt_hi_u32_b32 v4, -1, v1
	v_lshl_or_b32 v0, s6, 13, v0
	v_mov_b32_e32 v1, 0
	v_lshlrev_b64 v[2:3], 3, v[0:1]
	s_waitcnt lgkmcnt(0)
	v_mov_b32_e32 v0, s1
	v_add_co_u32_e32 v2, vcc, s0, v2
	v_addc_co_u32_e32 v0, vcc, v0, v3, vcc
	v_lshlrev_b32_e32 v3, 3, v4
	v_add_co_u32_e32 v2, vcc, v2, v3
	v_lshlrev_b32_e32 v3, 8, v4
	v_addc_co_u32_e32 v0, vcc, 0, v0, vcc
	v_and_b32_e32 v3, 0x4000, v3
	v_add_co_u32_e32 v2, vcc, v2, v3
	v_addc_co_u32_e32 v3, vcc, 0, v0, vcc
	v_mov_b32_e32 v5, 0x3ff00000
	v_mov_b32_e32 v4, v1
	global_store_dwordx2 v[2:3], v[4:5], off offset:512
	v_mov_b32_e32 v5, 2.0
	global_store_dwordx2 v[2:3], v[4:5], off offset:1024
	v_mov_b32_e32 v5, 0x40080000
	global_store_dwordx2 v[2:3], v[4:5], off offset:1536
	v_mov_b32_e32 v5, 0x40100000
	;; [unrolled: 2-line block ×5, first 2 shown]
	s_movk_i32 s0, 0x1000
	global_store_dwordx2 v[2:3], v[4:5], off offset:3584
	v_add_co_u32_e32 v4, vcc, s0, v2
	v_addc_co_u32_e32 v5, vcc, 0, v3, vcc
	s_movk_i32 s0, 0x2000
	v_add_co_u32_e32 v8, vcc, s0, v2
	v_mov_b32_e32 v7, 0x40200000
	v_mov_b32_e32 v6, v1
	v_addc_co_u32_e32 v9, vcc, 0, v3, vcc
	global_store_dwordx2 v[8:9], v[6:7], off offset:-4096
	v_mov_b32_e32 v7, 0x40220000
	global_store_dwordx2 v[4:5], v[6:7], off offset:512
	v_mov_b32_e32 v7, 0x40240000
	global_store_dwordx2 v[4:5], v[6:7], off offset:1024
	;; [unrolled: 2-line block ×7, first 2 shown]
	v_mov_b32_e32 v5, 0x40300000
	v_mov_b32_e32 v4, v1
	global_store_dwordx2 v[8:9], v[4:5], off
	v_mov_b32_e32 v5, 0x40310000
	global_store_dwordx2 v[8:9], v[4:5], off offset:512
	v_mov_b32_e32 v5, 0x40320000
	global_store_dwordx2 v[8:9], v[4:5], off offset:1024
	;; [unrolled: 2-line block ×4, first 2 shown]
	v_mov_b32_e32 v5, 0x40350000
	v_mov_b32_e32 v0, v1
	global_store_dwordx2 v[8:9], v[4:5], off offset:2560
	v_mov_b32_e32 v5, 0x40360000
	s_movk_i32 s0, 0x3000
	global_store_dwordx2 v[2:3], v[0:1], off
	global_store_dwordx2 v[8:9], v[4:5], off offset:3072
	v_mov_b32_e32 v5, 0x40370000
	v_add_co_u32_e32 v2, vcc, s0, v2
	global_store_dwordx2 v[8:9], v[4:5], off offset:3584
	v_addc_co_u32_e32 v3, vcc, 0, v3, vcc
	v_mov_b32_e32 v5, 0x40380000
	global_store_dwordx2 v[2:3], v[4:5], off
	v_mov_b32_e32 v5, 0x40390000
	global_store_dwordx2 v[2:3], v[4:5], off offset:512
	v_mov_b32_e32 v5, 0x403a0000
	global_store_dwordx2 v[2:3], v[4:5], off offset:1024
	;; [unrolled: 2-line block ×7, first 2 shown]
	s_endpgm
	.section	.rodata,"a",@progbits
	.p2align	6, 0x0
	.amdhsa_kernel _Z17warp_store_kernelILj256ELj32ELj64ELN6hipcub18WarpStoreAlgorithmE1EdEvPT3_
		.amdhsa_group_segment_fixed_size 0
		.amdhsa_private_segment_fixed_size 0
		.amdhsa_kernarg_size 8
		.amdhsa_user_sgpr_count 6
		.amdhsa_user_sgpr_private_segment_buffer 1
		.amdhsa_user_sgpr_dispatch_ptr 0
		.amdhsa_user_sgpr_queue_ptr 0
		.amdhsa_user_sgpr_kernarg_segment_ptr 1
		.amdhsa_user_sgpr_dispatch_id 0
		.amdhsa_user_sgpr_flat_scratch_init 0
		.amdhsa_user_sgpr_private_segment_size 0
		.amdhsa_uses_dynamic_stack 0
		.amdhsa_system_sgpr_private_segment_wavefront_offset 0
		.amdhsa_system_sgpr_workgroup_id_x 1
		.amdhsa_system_sgpr_workgroup_id_y 0
		.amdhsa_system_sgpr_workgroup_id_z 0
		.amdhsa_system_sgpr_workgroup_info 0
		.amdhsa_system_vgpr_workitem_id 0
		.amdhsa_next_free_vgpr 10
		.amdhsa_next_free_sgpr 7
		.amdhsa_reserve_vcc 1
		.amdhsa_reserve_flat_scratch 0
		.amdhsa_float_round_mode_32 0
		.amdhsa_float_round_mode_16_64 0
		.amdhsa_float_denorm_mode_32 3
		.amdhsa_float_denorm_mode_16_64 3
		.amdhsa_dx10_clamp 1
		.amdhsa_ieee_mode 1
		.amdhsa_fp16_overflow 0
		.amdhsa_exception_fp_ieee_invalid_op 0
		.amdhsa_exception_fp_denorm_src 0
		.amdhsa_exception_fp_ieee_div_zero 0
		.amdhsa_exception_fp_ieee_overflow 0
		.amdhsa_exception_fp_ieee_underflow 0
		.amdhsa_exception_fp_ieee_inexact 0
		.amdhsa_exception_int_div_zero 0
	.end_amdhsa_kernel
	.section	.text._Z17warp_store_kernelILj256ELj32ELj64ELN6hipcub18WarpStoreAlgorithmE1EdEvPT3_,"axG",@progbits,_Z17warp_store_kernelILj256ELj32ELj64ELN6hipcub18WarpStoreAlgorithmE1EdEvPT3_,comdat
.Lfunc_end68:
	.size	_Z17warp_store_kernelILj256ELj32ELj64ELN6hipcub18WarpStoreAlgorithmE1EdEvPT3_, .Lfunc_end68-_Z17warp_store_kernelILj256ELj32ELj64ELN6hipcub18WarpStoreAlgorithmE1EdEvPT3_
                                        ; -- End function
	.set _Z17warp_store_kernelILj256ELj32ELj64ELN6hipcub18WarpStoreAlgorithmE1EdEvPT3_.num_vgpr, 10
	.set _Z17warp_store_kernelILj256ELj32ELj64ELN6hipcub18WarpStoreAlgorithmE1EdEvPT3_.num_agpr, 0
	.set _Z17warp_store_kernelILj256ELj32ELj64ELN6hipcub18WarpStoreAlgorithmE1EdEvPT3_.numbered_sgpr, 7
	.set _Z17warp_store_kernelILj256ELj32ELj64ELN6hipcub18WarpStoreAlgorithmE1EdEvPT3_.num_named_barrier, 0
	.set _Z17warp_store_kernelILj256ELj32ELj64ELN6hipcub18WarpStoreAlgorithmE1EdEvPT3_.private_seg_size, 0
	.set _Z17warp_store_kernelILj256ELj32ELj64ELN6hipcub18WarpStoreAlgorithmE1EdEvPT3_.uses_vcc, 1
	.set _Z17warp_store_kernelILj256ELj32ELj64ELN6hipcub18WarpStoreAlgorithmE1EdEvPT3_.uses_flat_scratch, 0
	.set _Z17warp_store_kernelILj256ELj32ELj64ELN6hipcub18WarpStoreAlgorithmE1EdEvPT3_.has_dyn_sized_stack, 0
	.set _Z17warp_store_kernelILj256ELj32ELj64ELN6hipcub18WarpStoreAlgorithmE1EdEvPT3_.has_recursion, 0
	.set _Z17warp_store_kernelILj256ELj32ELj64ELN6hipcub18WarpStoreAlgorithmE1EdEvPT3_.has_indirect_call, 0
	.section	.AMDGPU.csdata,"",@progbits
; Kernel info:
; codeLenInByte = 660
; TotalNumSgprs: 11
; NumVgprs: 10
; ScratchSize: 0
; MemoryBound: 1
; FloatMode: 240
; IeeeMode: 1
; LDSByteSize: 0 bytes/workgroup (compile time only)
; SGPRBlocks: 1
; VGPRBlocks: 2
; NumSGPRsForWavesPerEU: 11
; NumVGPRsForWavesPerEU: 10
; Occupancy: 10
; WaveLimiterHint : 1
; COMPUTE_PGM_RSRC2:SCRATCH_EN: 0
; COMPUTE_PGM_RSRC2:USER_SGPR: 6
; COMPUTE_PGM_RSRC2:TRAP_HANDLER: 0
; COMPUTE_PGM_RSRC2:TGID_X_EN: 1
; COMPUTE_PGM_RSRC2:TGID_Y_EN: 0
; COMPUTE_PGM_RSRC2:TGID_Z_EN: 0
; COMPUTE_PGM_RSRC2:TIDIG_COMP_CNT: 0
	.section	.text._Z17warp_store_kernelILj256ELj32ELj64ELN6hipcub18WarpStoreAlgorithmE2EdEvPT3_,"axG",@progbits,_Z17warp_store_kernelILj256ELj32ELj64ELN6hipcub18WarpStoreAlgorithmE2EdEvPT3_,comdat
	.protected	_Z17warp_store_kernelILj256ELj32ELj64ELN6hipcub18WarpStoreAlgorithmE2EdEvPT3_ ; -- Begin function _Z17warp_store_kernelILj256ELj32ELj64ELN6hipcub18WarpStoreAlgorithmE2EdEvPT3_
	.globl	_Z17warp_store_kernelILj256ELj32ELj64ELN6hipcub18WarpStoreAlgorithmE2EdEvPT3_
	.p2align	8
	.type	_Z17warp_store_kernelILj256ELj32ELj64ELN6hipcub18WarpStoreAlgorithmE2EdEvPT3_,@function
_Z17warp_store_kernelILj256ELj32ELj64ELN6hipcub18WarpStoreAlgorithmE2EdEvPT3_: ; @_Z17warp_store_kernelILj256ELj32ELj64ELN6hipcub18WarpStoreAlgorithmE2EdEvPT3_
; %bb.0:
	s_load_dwordx2 s[0:1], s[4:5], 0x0
	v_lshlrev_b32_e32 v0, 5, v0
	v_mbcnt_lo_u32_b32 v1, -1, 0
	v_and_b32_e32 v0, 0x1800, v0
	v_mbcnt_hi_u32_b32 v4, -1, v1
	v_lshl_or_b32 v0, s6, 13, v0
	v_mov_b32_e32 v1, 0
	v_lshlrev_b64 v[2:3], 3, v[0:1]
	s_waitcnt lgkmcnt(0)
	v_mov_b32_e32 v0, s1
	v_add_co_u32_e32 v2, vcc, s0, v2
	v_addc_co_u32_e32 v0, vcc, v0, v3, vcc
	v_lshlrev_b32_e32 v3, 8, v4
	v_add_co_u32_e32 v6, vcc, v2, v3
	v_addc_co_u32_e32 v7, vcc, 0, v0, vcc
	v_mov_b32_e32 v3, 0x3ff00000
	v_mov_b32_e32 v0, v1
	;; [unrolled: 1-line block ×3, first 2 shown]
	global_store_dwordx4 v[6:7], v[0:3], off
	v_mov_b32_e32 v5, 0x40080000
	v_mov_b32_e32 v3, 2.0
	v_mov_b32_e32 v4, v1
	global_store_dwordx4 v[6:7], v[2:5], off offset:16
	s_nop 0
	v_mov_b32_e32 v3, 0x40100000
	v_mov_b32_e32 v5, 0x40140000
	global_store_dwordx4 v[6:7], v[2:5], off offset:32
	s_nop 0
	v_mov_b32_e32 v3, 0x40180000
	;; [unrolled: 4-line block ×14, first 2 shown]
	v_mov_b32_e32 v5, 0x403f0000
	global_store_dwordx4 v[6:7], v[2:5], off offset:240
	s_endpgm
	.section	.rodata,"a",@progbits
	.p2align	6, 0x0
	.amdhsa_kernel _Z17warp_store_kernelILj256ELj32ELj64ELN6hipcub18WarpStoreAlgorithmE2EdEvPT3_
		.amdhsa_group_segment_fixed_size 0
		.amdhsa_private_segment_fixed_size 0
		.amdhsa_kernarg_size 8
		.amdhsa_user_sgpr_count 6
		.amdhsa_user_sgpr_private_segment_buffer 1
		.amdhsa_user_sgpr_dispatch_ptr 0
		.amdhsa_user_sgpr_queue_ptr 0
		.amdhsa_user_sgpr_kernarg_segment_ptr 1
		.amdhsa_user_sgpr_dispatch_id 0
		.amdhsa_user_sgpr_flat_scratch_init 0
		.amdhsa_user_sgpr_private_segment_size 0
		.amdhsa_uses_dynamic_stack 0
		.amdhsa_system_sgpr_private_segment_wavefront_offset 0
		.amdhsa_system_sgpr_workgroup_id_x 1
		.amdhsa_system_sgpr_workgroup_id_y 0
		.amdhsa_system_sgpr_workgroup_id_z 0
		.amdhsa_system_sgpr_workgroup_info 0
		.amdhsa_system_vgpr_workitem_id 0
		.amdhsa_next_free_vgpr 8
		.amdhsa_next_free_sgpr 7
		.amdhsa_reserve_vcc 1
		.amdhsa_reserve_flat_scratch 0
		.amdhsa_float_round_mode_32 0
		.amdhsa_float_round_mode_16_64 0
		.amdhsa_float_denorm_mode_32 3
		.amdhsa_float_denorm_mode_16_64 3
		.amdhsa_dx10_clamp 1
		.amdhsa_ieee_mode 1
		.amdhsa_fp16_overflow 0
		.amdhsa_exception_fp_ieee_invalid_op 0
		.amdhsa_exception_fp_denorm_src 0
		.amdhsa_exception_fp_ieee_div_zero 0
		.amdhsa_exception_fp_ieee_overflow 0
		.amdhsa_exception_fp_ieee_underflow 0
		.amdhsa_exception_fp_ieee_inexact 0
		.amdhsa_exception_int_div_zero 0
	.end_amdhsa_kernel
	.section	.text._Z17warp_store_kernelILj256ELj32ELj64ELN6hipcub18WarpStoreAlgorithmE2EdEvPT3_,"axG",@progbits,_Z17warp_store_kernelILj256ELj32ELj64ELN6hipcub18WarpStoreAlgorithmE2EdEvPT3_,comdat
.Lfunc_end69:
	.size	_Z17warp_store_kernelILj256ELj32ELj64ELN6hipcub18WarpStoreAlgorithmE2EdEvPT3_, .Lfunc_end69-_Z17warp_store_kernelILj256ELj32ELj64ELN6hipcub18WarpStoreAlgorithmE2EdEvPT3_
                                        ; -- End function
	.set _Z17warp_store_kernelILj256ELj32ELj64ELN6hipcub18WarpStoreAlgorithmE2EdEvPT3_.num_vgpr, 8
	.set _Z17warp_store_kernelILj256ELj32ELj64ELN6hipcub18WarpStoreAlgorithmE2EdEvPT3_.num_agpr, 0
	.set _Z17warp_store_kernelILj256ELj32ELj64ELN6hipcub18WarpStoreAlgorithmE2EdEvPT3_.numbered_sgpr, 7
	.set _Z17warp_store_kernelILj256ELj32ELj64ELN6hipcub18WarpStoreAlgorithmE2EdEvPT3_.num_named_barrier, 0
	.set _Z17warp_store_kernelILj256ELj32ELj64ELN6hipcub18WarpStoreAlgorithmE2EdEvPT3_.private_seg_size, 0
	.set _Z17warp_store_kernelILj256ELj32ELj64ELN6hipcub18WarpStoreAlgorithmE2EdEvPT3_.uses_vcc, 1
	.set _Z17warp_store_kernelILj256ELj32ELj64ELN6hipcub18WarpStoreAlgorithmE2EdEvPT3_.uses_flat_scratch, 0
	.set _Z17warp_store_kernelILj256ELj32ELj64ELN6hipcub18WarpStoreAlgorithmE2EdEvPT3_.has_dyn_sized_stack, 0
	.set _Z17warp_store_kernelILj256ELj32ELj64ELN6hipcub18WarpStoreAlgorithmE2EdEvPT3_.has_recursion, 0
	.set _Z17warp_store_kernelILj256ELj32ELj64ELN6hipcub18WarpStoreAlgorithmE2EdEvPT3_.has_indirect_call, 0
	.section	.AMDGPU.csdata,"",@progbits
; Kernel info:
; codeLenInByte = 528
; TotalNumSgprs: 11
; NumVgprs: 8
; ScratchSize: 0
; MemoryBound: 1
; FloatMode: 240
; IeeeMode: 1
; LDSByteSize: 0 bytes/workgroup (compile time only)
; SGPRBlocks: 1
; VGPRBlocks: 1
; NumSGPRsForWavesPerEU: 11
; NumVGPRsForWavesPerEU: 8
; Occupancy: 10
; WaveLimiterHint : 1
; COMPUTE_PGM_RSRC2:SCRATCH_EN: 0
; COMPUTE_PGM_RSRC2:USER_SGPR: 6
; COMPUTE_PGM_RSRC2:TRAP_HANDLER: 0
; COMPUTE_PGM_RSRC2:TGID_X_EN: 1
; COMPUTE_PGM_RSRC2:TGID_Y_EN: 0
; COMPUTE_PGM_RSRC2:TGID_Z_EN: 0
; COMPUTE_PGM_RSRC2:TIDIG_COMP_CNT: 0
	.section	.text._Z17warp_store_kernelILj256ELj64ELj64ELN6hipcub18WarpStoreAlgorithmE0EdEvPT3_,"axG",@progbits,_Z17warp_store_kernelILj256ELj64ELj64ELN6hipcub18WarpStoreAlgorithmE0EdEvPT3_,comdat
	.protected	_Z17warp_store_kernelILj256ELj64ELj64ELN6hipcub18WarpStoreAlgorithmE0EdEvPT3_ ; -- Begin function _Z17warp_store_kernelILj256ELj64ELj64ELN6hipcub18WarpStoreAlgorithmE0EdEvPT3_
	.globl	_Z17warp_store_kernelILj256ELj64ELj64ELN6hipcub18WarpStoreAlgorithmE0EdEvPT3_
	.p2align	8
	.type	_Z17warp_store_kernelILj256ELj64ELj64ELN6hipcub18WarpStoreAlgorithmE0EdEvPT3_,@function
_Z17warp_store_kernelILj256ELj64ELj64ELN6hipcub18WarpStoreAlgorithmE0EdEvPT3_: ; @_Z17warp_store_kernelILj256ELj64ELj64ELN6hipcub18WarpStoreAlgorithmE0EdEvPT3_
; %bb.0:
	s_load_dwordx2 s[0:1], s[4:5], 0x0
	v_lshlrev_b32_e32 v0, 6, v0
	v_mbcnt_lo_u32_b32 v1, -1, 0
	v_and_b32_e32 v0, 0x3000, v0
	v_mbcnt_hi_u32_b32 v4, -1, v1
	v_lshl_or_b32 v0, s6, 14, v0
	v_mov_b32_e32 v1, 0
	v_lshlrev_b64 v[2:3], 3, v[0:1]
	s_waitcnt lgkmcnt(0)
	v_mov_b32_e32 v0, s1
	v_add_co_u32_e32 v2, vcc, s0, v2
	v_addc_co_u32_e32 v0, vcc, v0, v3, vcc
	v_lshlrev_b32_e32 v3, 9, v4
	v_add_co_u32_e32 v6, vcc, v2, v3
	v_addc_co_u32_e32 v7, vcc, 0, v0, vcc
	v_mov_b32_e32 v3, 0x3ff00000
	v_mov_b32_e32 v0, v1
	;; [unrolled: 1-line block ×3, first 2 shown]
	global_store_dwordx4 v[6:7], v[0:3], off
	v_mov_b32_e32 v5, 0x40080000
	v_mov_b32_e32 v3, 2.0
	v_mov_b32_e32 v4, v1
	global_store_dwordx4 v[6:7], v[2:5], off offset:16
	s_nop 0
	v_mov_b32_e32 v3, 0x40100000
	v_mov_b32_e32 v5, 0x40140000
	global_store_dwordx4 v[6:7], v[2:5], off offset:32
	s_nop 0
	v_mov_b32_e32 v3, 0x40180000
	;; [unrolled: 4-line block ×30, first 2 shown]
	v_mov_b32_e32 v5, 0x404f8000
	global_store_dwordx4 v[6:7], v[2:5], off offset:496
	s_endpgm
	.section	.rodata,"a",@progbits
	.p2align	6, 0x0
	.amdhsa_kernel _Z17warp_store_kernelILj256ELj64ELj64ELN6hipcub18WarpStoreAlgorithmE0EdEvPT3_
		.amdhsa_group_segment_fixed_size 0
		.amdhsa_private_segment_fixed_size 0
		.amdhsa_kernarg_size 8
		.amdhsa_user_sgpr_count 6
		.amdhsa_user_sgpr_private_segment_buffer 1
		.amdhsa_user_sgpr_dispatch_ptr 0
		.amdhsa_user_sgpr_queue_ptr 0
		.amdhsa_user_sgpr_kernarg_segment_ptr 1
		.amdhsa_user_sgpr_dispatch_id 0
		.amdhsa_user_sgpr_flat_scratch_init 0
		.amdhsa_user_sgpr_private_segment_size 0
		.amdhsa_uses_dynamic_stack 0
		.amdhsa_system_sgpr_private_segment_wavefront_offset 0
		.amdhsa_system_sgpr_workgroup_id_x 1
		.amdhsa_system_sgpr_workgroup_id_y 0
		.amdhsa_system_sgpr_workgroup_id_z 0
		.amdhsa_system_sgpr_workgroup_info 0
		.amdhsa_system_vgpr_workitem_id 0
		.amdhsa_next_free_vgpr 8
		.amdhsa_next_free_sgpr 7
		.amdhsa_reserve_vcc 1
		.amdhsa_reserve_flat_scratch 0
		.amdhsa_float_round_mode_32 0
		.amdhsa_float_round_mode_16_64 0
		.amdhsa_float_denorm_mode_32 3
		.amdhsa_float_denorm_mode_16_64 3
		.amdhsa_dx10_clamp 1
		.amdhsa_ieee_mode 1
		.amdhsa_fp16_overflow 0
		.amdhsa_exception_fp_ieee_invalid_op 0
		.amdhsa_exception_fp_denorm_src 0
		.amdhsa_exception_fp_ieee_div_zero 0
		.amdhsa_exception_fp_ieee_overflow 0
		.amdhsa_exception_fp_ieee_underflow 0
		.amdhsa_exception_fp_ieee_inexact 0
		.amdhsa_exception_int_div_zero 0
	.end_amdhsa_kernel
	.section	.text._Z17warp_store_kernelILj256ELj64ELj64ELN6hipcub18WarpStoreAlgorithmE0EdEvPT3_,"axG",@progbits,_Z17warp_store_kernelILj256ELj64ELj64ELN6hipcub18WarpStoreAlgorithmE0EdEvPT3_,comdat
.Lfunc_end70:
	.size	_Z17warp_store_kernelILj256ELj64ELj64ELN6hipcub18WarpStoreAlgorithmE0EdEvPT3_, .Lfunc_end70-_Z17warp_store_kernelILj256ELj64ELj64ELN6hipcub18WarpStoreAlgorithmE0EdEvPT3_
                                        ; -- End function
	.set _Z17warp_store_kernelILj256ELj64ELj64ELN6hipcub18WarpStoreAlgorithmE0EdEvPT3_.num_vgpr, 8
	.set _Z17warp_store_kernelILj256ELj64ELj64ELN6hipcub18WarpStoreAlgorithmE0EdEvPT3_.num_agpr, 0
	.set _Z17warp_store_kernelILj256ELj64ELj64ELN6hipcub18WarpStoreAlgorithmE0EdEvPT3_.numbered_sgpr, 7
	.set _Z17warp_store_kernelILj256ELj64ELj64ELN6hipcub18WarpStoreAlgorithmE0EdEvPT3_.num_named_barrier, 0
	.set _Z17warp_store_kernelILj256ELj64ELj64ELN6hipcub18WarpStoreAlgorithmE0EdEvPT3_.private_seg_size, 0
	.set _Z17warp_store_kernelILj256ELj64ELj64ELN6hipcub18WarpStoreAlgorithmE0EdEvPT3_.uses_vcc, 1
	.set _Z17warp_store_kernelILj256ELj64ELj64ELN6hipcub18WarpStoreAlgorithmE0EdEvPT3_.uses_flat_scratch, 0
	.set _Z17warp_store_kernelILj256ELj64ELj64ELN6hipcub18WarpStoreAlgorithmE0EdEvPT3_.has_dyn_sized_stack, 0
	.set _Z17warp_store_kernelILj256ELj64ELj64ELN6hipcub18WarpStoreAlgorithmE0EdEvPT3_.has_recursion, 0
	.set _Z17warp_store_kernelILj256ELj64ELj64ELN6hipcub18WarpStoreAlgorithmE0EdEvPT3_.has_indirect_call, 0
	.section	.AMDGPU.csdata,"",@progbits
; Kernel info:
; codeLenInByte = 976
; TotalNumSgprs: 11
; NumVgprs: 8
; ScratchSize: 0
; MemoryBound: 1
; FloatMode: 240
; IeeeMode: 1
; LDSByteSize: 0 bytes/workgroup (compile time only)
; SGPRBlocks: 1
; VGPRBlocks: 1
; NumSGPRsForWavesPerEU: 11
; NumVGPRsForWavesPerEU: 8
; Occupancy: 10
; WaveLimiterHint : 1
; COMPUTE_PGM_RSRC2:SCRATCH_EN: 0
; COMPUTE_PGM_RSRC2:USER_SGPR: 6
; COMPUTE_PGM_RSRC2:TRAP_HANDLER: 0
; COMPUTE_PGM_RSRC2:TGID_X_EN: 1
; COMPUTE_PGM_RSRC2:TGID_Y_EN: 0
; COMPUTE_PGM_RSRC2:TGID_Z_EN: 0
; COMPUTE_PGM_RSRC2:TIDIG_COMP_CNT: 0
	.section	.text._Z17warp_store_kernelILj256ELj64ELj64ELN6hipcub18WarpStoreAlgorithmE1EdEvPT3_,"axG",@progbits,_Z17warp_store_kernelILj256ELj64ELj64ELN6hipcub18WarpStoreAlgorithmE1EdEvPT3_,comdat
	.protected	_Z17warp_store_kernelILj256ELj64ELj64ELN6hipcub18WarpStoreAlgorithmE1EdEvPT3_ ; -- Begin function _Z17warp_store_kernelILj256ELj64ELj64ELN6hipcub18WarpStoreAlgorithmE1EdEvPT3_
	.globl	_Z17warp_store_kernelILj256ELj64ELj64ELN6hipcub18WarpStoreAlgorithmE1EdEvPT3_
	.p2align	8
	.type	_Z17warp_store_kernelILj256ELj64ELj64ELN6hipcub18WarpStoreAlgorithmE1EdEvPT3_,@function
_Z17warp_store_kernelILj256ELj64ELj64ELN6hipcub18WarpStoreAlgorithmE1EdEvPT3_: ; @_Z17warp_store_kernelILj256ELj64ELj64ELN6hipcub18WarpStoreAlgorithmE1EdEvPT3_
; %bb.0:
	s_load_dwordx2 s[0:1], s[4:5], 0x0
	v_lshlrev_b32_e32 v0, 6, v0
	v_mbcnt_lo_u32_b32 v1, -1, 0
	v_and_b32_e32 v0, 0x3000, v0
	v_mbcnt_hi_u32_b32 v4, -1, v1
	v_lshl_or_b32 v0, s6, 14, v0
	v_mov_b32_e32 v1, 0
	v_lshlrev_b64 v[2:3], 3, v[0:1]
	s_waitcnt lgkmcnt(0)
	v_mov_b32_e32 v0, s1
	v_add_co_u32_e32 v2, vcc, s0, v2
	v_addc_co_u32_e32 v0, vcc, v0, v3, vcc
	v_lshlrev_b32_e32 v3, 3, v4
	v_add_co_u32_e32 v2, vcc, v2, v3
	v_lshlrev_b32_e32 v3, 9, v4
	v_addc_co_u32_e32 v0, vcc, 0, v0, vcc
	v_and_b32_e32 v3, 0x8000, v3
	v_add_co_u32_e32 v2, vcc, v2, v3
	v_addc_co_u32_e32 v3, vcc, 0, v0, vcc
	v_mov_b32_e32 v5, 0x3ff00000
	v_mov_b32_e32 v4, v1
	global_store_dwordx2 v[2:3], v[4:5], off offset:512
	v_mov_b32_e32 v5, 2.0
	global_store_dwordx2 v[2:3], v[4:5], off offset:1024
	v_mov_b32_e32 v5, 0x40080000
	global_store_dwordx2 v[2:3], v[4:5], off offset:1536
	v_mov_b32_e32 v5, 0x40100000
	;; [unrolled: 2-line block ×5, first 2 shown]
	s_movk_i32 s0, 0x1000
	global_store_dwordx2 v[2:3], v[4:5], off offset:3584
	v_add_co_u32_e32 v4, vcc, s0, v2
	v_addc_co_u32_e32 v5, vcc, 0, v3, vcc
	s_movk_i32 s0, 0x2000
	v_add_co_u32_e32 v8, vcc, s0, v2
	v_mov_b32_e32 v7, 0x40200000
	v_mov_b32_e32 v6, v1
	v_addc_co_u32_e32 v9, vcc, 0, v3, vcc
	global_store_dwordx2 v[8:9], v[6:7], off offset:-4096
	v_mov_b32_e32 v7, 0x40220000
	global_store_dwordx2 v[4:5], v[6:7], off offset:512
	v_mov_b32_e32 v7, 0x40240000
	global_store_dwordx2 v[4:5], v[6:7], off offset:1024
	;; [unrolled: 2-line block ×7, first 2 shown]
	v_mov_b32_e32 v5, 0x40300000
	v_mov_b32_e32 v4, v1
	global_store_dwordx2 v[8:9], v[4:5], off
	v_mov_b32_e32 v5, 0x40310000
	global_store_dwordx2 v[8:9], v[4:5], off offset:512
	v_mov_b32_e32 v5, 0x40320000
	global_store_dwordx2 v[8:9], v[4:5], off offset:1024
	;; [unrolled: 2-line block ×5, first 2 shown]
	v_mov_b32_e32 v5, 0x40360000
	s_movk_i32 s2, 0x3000
	global_store_dwordx2 v[8:9], v[4:5], off offset:3072
	v_mov_b32_e32 v5, 0x40370000
	global_store_dwordx2 v[8:9], v[4:5], off offset:3584
	v_add_co_u32_e32 v4, vcc, s2, v2
	v_addc_co_u32_e32 v5, vcc, 0, v3, vcc
	s_movk_i32 s0, 0x4000
	v_add_co_u32_e32 v8, vcc, s0, v2
	v_mov_b32_e32 v7, 0x40380000
	v_addc_co_u32_e32 v9, vcc, 0, v3, vcc
	global_store_dwordx2 v[8:9], v[6:7], off offset:-4096
	v_mov_b32_e32 v7, 0x40390000
	global_store_dwordx2 v[4:5], v[6:7], off offset:512
	v_mov_b32_e32 v7, 0x403a0000
	global_store_dwordx2 v[4:5], v[6:7], off offset:1024
	;; [unrolled: 2-line block ×7, first 2 shown]
	v_mov_b32_e32 v5, 0x40400000
	v_mov_b32_e32 v4, v1
	global_store_dwordx2 v[8:9], v[4:5], off
	v_mov_b32_e32 v5, 0x40408000
	global_store_dwordx2 v[8:9], v[4:5], off offset:512
	v_mov_b32_e32 v5, 0x40410000
	global_store_dwordx2 v[8:9], v[4:5], off offset:1024
	;; [unrolled: 2-line block ×6, first 2 shown]
	v_mov_b32_e32 v5, 0x40438000
	s_movk_i32 s0, 0x5000
	global_store_dwordx2 v[8:9], v[4:5], off offset:3584
	v_add_co_u32_e32 v4, vcc, s0, v2
	v_addc_co_u32_e32 v5, vcc, 0, v3, vcc
	s_movk_i32 s0, 0x6000
	v_add_co_u32_e32 v8, vcc, s0, v2
	v_mov_b32_e32 v7, 0x40440000
	v_addc_co_u32_e32 v9, vcc, 0, v3, vcc
	global_store_dwordx2 v[8:9], v[6:7], off offset:-4096
	v_mov_b32_e32 v7, 0x40448000
	global_store_dwordx2 v[4:5], v[6:7], off offset:512
	v_mov_b32_e32 v7, 0x40450000
	global_store_dwordx2 v[4:5], v[6:7], off offset:1024
	;; [unrolled: 2-line block ×7, first 2 shown]
	v_mov_b32_e32 v5, 0x40480000
	v_mov_b32_e32 v4, v1
	global_store_dwordx2 v[8:9], v[4:5], off
	v_mov_b32_e32 v5, 0x40488000
	global_store_dwordx2 v[8:9], v[4:5], off offset:512
	v_mov_b32_e32 v5, 0x40490000
	global_store_dwordx2 v[8:9], v[4:5], off offset:1024
	;; [unrolled: 2-line block ×4, first 2 shown]
	v_mov_b32_e32 v5, 0x404a8000
	v_mov_b32_e32 v0, v1
	global_store_dwordx2 v[8:9], v[4:5], off offset:2560
	v_mov_b32_e32 v5, 0x404b0000
	s_movk_i32 s0, 0x7000
	global_store_dwordx2 v[2:3], v[0:1], off
	global_store_dwordx2 v[8:9], v[4:5], off offset:3072
	v_mov_b32_e32 v5, 0x404b8000
	v_add_co_u32_e32 v2, vcc, s0, v2
	global_store_dwordx2 v[8:9], v[4:5], off offset:3584
	v_addc_co_u32_e32 v3, vcc, 0, v3, vcc
	v_mov_b32_e32 v5, 0x404c0000
	global_store_dwordx2 v[2:3], v[4:5], off
	v_mov_b32_e32 v5, 0x404c8000
	global_store_dwordx2 v[2:3], v[4:5], off offset:512
	v_mov_b32_e32 v5, 0x404d0000
	global_store_dwordx2 v[2:3], v[4:5], off offset:1024
	;; [unrolled: 2-line block ×7, first 2 shown]
	s_endpgm
	.section	.rodata,"a",@progbits
	.p2align	6, 0x0
	.amdhsa_kernel _Z17warp_store_kernelILj256ELj64ELj64ELN6hipcub18WarpStoreAlgorithmE1EdEvPT3_
		.amdhsa_group_segment_fixed_size 0
		.amdhsa_private_segment_fixed_size 0
		.amdhsa_kernarg_size 8
		.amdhsa_user_sgpr_count 6
		.amdhsa_user_sgpr_private_segment_buffer 1
		.amdhsa_user_sgpr_dispatch_ptr 0
		.amdhsa_user_sgpr_queue_ptr 0
		.amdhsa_user_sgpr_kernarg_segment_ptr 1
		.amdhsa_user_sgpr_dispatch_id 0
		.amdhsa_user_sgpr_flat_scratch_init 0
		.amdhsa_user_sgpr_private_segment_size 0
		.amdhsa_uses_dynamic_stack 0
		.amdhsa_system_sgpr_private_segment_wavefront_offset 0
		.amdhsa_system_sgpr_workgroup_id_x 1
		.amdhsa_system_sgpr_workgroup_id_y 0
		.amdhsa_system_sgpr_workgroup_id_z 0
		.amdhsa_system_sgpr_workgroup_info 0
		.amdhsa_system_vgpr_workitem_id 0
		.amdhsa_next_free_vgpr 10
		.amdhsa_next_free_sgpr 7
		.amdhsa_reserve_vcc 1
		.amdhsa_reserve_flat_scratch 0
		.amdhsa_float_round_mode_32 0
		.amdhsa_float_round_mode_16_64 0
		.amdhsa_float_denorm_mode_32 3
		.amdhsa_float_denorm_mode_16_64 3
		.amdhsa_dx10_clamp 1
		.amdhsa_ieee_mode 1
		.amdhsa_fp16_overflow 0
		.amdhsa_exception_fp_ieee_invalid_op 0
		.amdhsa_exception_fp_denorm_src 0
		.amdhsa_exception_fp_ieee_div_zero 0
		.amdhsa_exception_fp_ieee_overflow 0
		.amdhsa_exception_fp_ieee_underflow 0
		.amdhsa_exception_fp_ieee_inexact 0
		.amdhsa_exception_int_div_zero 0
	.end_amdhsa_kernel
	.section	.text._Z17warp_store_kernelILj256ELj64ELj64ELN6hipcub18WarpStoreAlgorithmE1EdEvPT3_,"axG",@progbits,_Z17warp_store_kernelILj256ELj64ELj64ELN6hipcub18WarpStoreAlgorithmE1EdEvPT3_,comdat
.Lfunc_end71:
	.size	_Z17warp_store_kernelILj256ELj64ELj64ELN6hipcub18WarpStoreAlgorithmE1EdEvPT3_, .Lfunc_end71-_Z17warp_store_kernelILj256ELj64ELj64ELN6hipcub18WarpStoreAlgorithmE1EdEvPT3_
                                        ; -- End function
	.set _Z17warp_store_kernelILj256ELj64ELj64ELN6hipcub18WarpStoreAlgorithmE1EdEvPT3_.num_vgpr, 10
	.set _Z17warp_store_kernelILj256ELj64ELj64ELN6hipcub18WarpStoreAlgorithmE1EdEvPT3_.num_agpr, 0
	.set _Z17warp_store_kernelILj256ELj64ELj64ELN6hipcub18WarpStoreAlgorithmE1EdEvPT3_.numbered_sgpr, 7
	.set _Z17warp_store_kernelILj256ELj64ELj64ELN6hipcub18WarpStoreAlgorithmE1EdEvPT3_.num_named_barrier, 0
	.set _Z17warp_store_kernelILj256ELj64ELj64ELN6hipcub18WarpStoreAlgorithmE1EdEvPT3_.private_seg_size, 0
	.set _Z17warp_store_kernelILj256ELj64ELj64ELN6hipcub18WarpStoreAlgorithmE1EdEvPT3_.uses_vcc, 1
	.set _Z17warp_store_kernelILj256ELj64ELj64ELN6hipcub18WarpStoreAlgorithmE1EdEvPT3_.uses_flat_scratch, 0
	.set _Z17warp_store_kernelILj256ELj64ELj64ELN6hipcub18WarpStoreAlgorithmE1EdEvPT3_.has_dyn_sized_stack, 0
	.set _Z17warp_store_kernelILj256ELj64ELj64ELN6hipcub18WarpStoreAlgorithmE1EdEvPT3_.has_recursion, 0
	.set _Z17warp_store_kernelILj256ELj64ELj64ELN6hipcub18WarpStoreAlgorithmE1EdEvPT3_.has_indirect_call, 0
	.section	.AMDGPU.csdata,"",@progbits
; Kernel info:
; codeLenInByte = 1228
; TotalNumSgprs: 11
; NumVgprs: 10
; ScratchSize: 0
; MemoryBound: 1
; FloatMode: 240
; IeeeMode: 1
; LDSByteSize: 0 bytes/workgroup (compile time only)
; SGPRBlocks: 1
; VGPRBlocks: 2
; NumSGPRsForWavesPerEU: 11
; NumVGPRsForWavesPerEU: 10
; Occupancy: 10
; WaveLimiterHint : 1
; COMPUTE_PGM_RSRC2:SCRATCH_EN: 0
; COMPUTE_PGM_RSRC2:USER_SGPR: 6
; COMPUTE_PGM_RSRC2:TRAP_HANDLER: 0
; COMPUTE_PGM_RSRC2:TGID_X_EN: 1
; COMPUTE_PGM_RSRC2:TGID_Y_EN: 0
; COMPUTE_PGM_RSRC2:TGID_Z_EN: 0
; COMPUTE_PGM_RSRC2:TIDIG_COMP_CNT: 0
	.section	.text._Z17warp_store_kernelILj256ELj64ELj64ELN6hipcub18WarpStoreAlgorithmE2EdEvPT3_,"axG",@progbits,_Z17warp_store_kernelILj256ELj64ELj64ELN6hipcub18WarpStoreAlgorithmE2EdEvPT3_,comdat
	.protected	_Z17warp_store_kernelILj256ELj64ELj64ELN6hipcub18WarpStoreAlgorithmE2EdEvPT3_ ; -- Begin function _Z17warp_store_kernelILj256ELj64ELj64ELN6hipcub18WarpStoreAlgorithmE2EdEvPT3_
	.globl	_Z17warp_store_kernelILj256ELj64ELj64ELN6hipcub18WarpStoreAlgorithmE2EdEvPT3_
	.p2align	8
	.type	_Z17warp_store_kernelILj256ELj64ELj64ELN6hipcub18WarpStoreAlgorithmE2EdEvPT3_,@function
_Z17warp_store_kernelILj256ELj64ELj64ELN6hipcub18WarpStoreAlgorithmE2EdEvPT3_: ; @_Z17warp_store_kernelILj256ELj64ELj64ELN6hipcub18WarpStoreAlgorithmE2EdEvPT3_
; %bb.0:
	s_load_dwordx2 s[0:1], s[4:5], 0x0
	v_lshlrev_b32_e32 v0, 6, v0
	v_mbcnt_lo_u32_b32 v1, -1, 0
	v_and_b32_e32 v0, 0x3000, v0
	v_mbcnt_hi_u32_b32 v4, -1, v1
	v_lshl_or_b32 v0, s6, 14, v0
	v_mov_b32_e32 v1, 0
	v_lshlrev_b64 v[2:3], 3, v[0:1]
	s_waitcnt lgkmcnt(0)
	v_mov_b32_e32 v0, s1
	v_add_co_u32_e32 v2, vcc, s0, v2
	v_addc_co_u32_e32 v0, vcc, v0, v3, vcc
	v_lshlrev_b32_e32 v3, 9, v4
	v_add_co_u32_e32 v6, vcc, v2, v3
	v_addc_co_u32_e32 v7, vcc, 0, v0, vcc
	v_mov_b32_e32 v3, 0x3ff00000
	v_mov_b32_e32 v0, v1
	;; [unrolled: 1-line block ×3, first 2 shown]
	global_store_dwordx4 v[6:7], v[0:3], off
	v_mov_b32_e32 v5, 0x40080000
	v_mov_b32_e32 v3, 2.0
	v_mov_b32_e32 v4, v1
	global_store_dwordx4 v[6:7], v[2:5], off offset:16
	s_nop 0
	v_mov_b32_e32 v3, 0x40100000
	v_mov_b32_e32 v5, 0x40140000
	global_store_dwordx4 v[6:7], v[2:5], off offset:32
	s_nop 0
	v_mov_b32_e32 v3, 0x40180000
	;; [unrolled: 4-line block ×30, first 2 shown]
	v_mov_b32_e32 v5, 0x404f8000
	global_store_dwordx4 v[6:7], v[2:5], off offset:496
	s_endpgm
	.section	.rodata,"a",@progbits
	.p2align	6, 0x0
	.amdhsa_kernel _Z17warp_store_kernelILj256ELj64ELj64ELN6hipcub18WarpStoreAlgorithmE2EdEvPT3_
		.amdhsa_group_segment_fixed_size 0
		.amdhsa_private_segment_fixed_size 0
		.amdhsa_kernarg_size 8
		.amdhsa_user_sgpr_count 6
		.amdhsa_user_sgpr_private_segment_buffer 1
		.amdhsa_user_sgpr_dispatch_ptr 0
		.amdhsa_user_sgpr_queue_ptr 0
		.amdhsa_user_sgpr_kernarg_segment_ptr 1
		.amdhsa_user_sgpr_dispatch_id 0
		.amdhsa_user_sgpr_flat_scratch_init 0
		.amdhsa_user_sgpr_private_segment_size 0
		.amdhsa_uses_dynamic_stack 0
		.amdhsa_system_sgpr_private_segment_wavefront_offset 0
		.amdhsa_system_sgpr_workgroup_id_x 1
		.amdhsa_system_sgpr_workgroup_id_y 0
		.amdhsa_system_sgpr_workgroup_id_z 0
		.amdhsa_system_sgpr_workgroup_info 0
		.amdhsa_system_vgpr_workitem_id 0
		.amdhsa_next_free_vgpr 8
		.amdhsa_next_free_sgpr 7
		.amdhsa_reserve_vcc 1
		.amdhsa_reserve_flat_scratch 0
		.amdhsa_float_round_mode_32 0
		.amdhsa_float_round_mode_16_64 0
		.amdhsa_float_denorm_mode_32 3
		.amdhsa_float_denorm_mode_16_64 3
		.amdhsa_dx10_clamp 1
		.amdhsa_ieee_mode 1
		.amdhsa_fp16_overflow 0
		.amdhsa_exception_fp_ieee_invalid_op 0
		.amdhsa_exception_fp_denorm_src 0
		.amdhsa_exception_fp_ieee_div_zero 0
		.amdhsa_exception_fp_ieee_overflow 0
		.amdhsa_exception_fp_ieee_underflow 0
		.amdhsa_exception_fp_ieee_inexact 0
		.amdhsa_exception_int_div_zero 0
	.end_amdhsa_kernel
	.section	.text._Z17warp_store_kernelILj256ELj64ELj64ELN6hipcub18WarpStoreAlgorithmE2EdEvPT3_,"axG",@progbits,_Z17warp_store_kernelILj256ELj64ELj64ELN6hipcub18WarpStoreAlgorithmE2EdEvPT3_,comdat
.Lfunc_end72:
	.size	_Z17warp_store_kernelILj256ELj64ELj64ELN6hipcub18WarpStoreAlgorithmE2EdEvPT3_, .Lfunc_end72-_Z17warp_store_kernelILj256ELj64ELj64ELN6hipcub18WarpStoreAlgorithmE2EdEvPT3_
                                        ; -- End function
	.set _Z17warp_store_kernelILj256ELj64ELj64ELN6hipcub18WarpStoreAlgorithmE2EdEvPT3_.num_vgpr, 8
	.set _Z17warp_store_kernelILj256ELj64ELj64ELN6hipcub18WarpStoreAlgorithmE2EdEvPT3_.num_agpr, 0
	.set _Z17warp_store_kernelILj256ELj64ELj64ELN6hipcub18WarpStoreAlgorithmE2EdEvPT3_.numbered_sgpr, 7
	.set _Z17warp_store_kernelILj256ELj64ELj64ELN6hipcub18WarpStoreAlgorithmE2EdEvPT3_.num_named_barrier, 0
	.set _Z17warp_store_kernelILj256ELj64ELj64ELN6hipcub18WarpStoreAlgorithmE2EdEvPT3_.private_seg_size, 0
	.set _Z17warp_store_kernelILj256ELj64ELj64ELN6hipcub18WarpStoreAlgorithmE2EdEvPT3_.uses_vcc, 1
	.set _Z17warp_store_kernelILj256ELj64ELj64ELN6hipcub18WarpStoreAlgorithmE2EdEvPT3_.uses_flat_scratch, 0
	.set _Z17warp_store_kernelILj256ELj64ELj64ELN6hipcub18WarpStoreAlgorithmE2EdEvPT3_.has_dyn_sized_stack, 0
	.set _Z17warp_store_kernelILj256ELj64ELj64ELN6hipcub18WarpStoreAlgorithmE2EdEvPT3_.has_recursion, 0
	.set _Z17warp_store_kernelILj256ELj64ELj64ELN6hipcub18WarpStoreAlgorithmE2EdEvPT3_.has_indirect_call, 0
	.section	.AMDGPU.csdata,"",@progbits
; Kernel info:
; codeLenInByte = 976
; TotalNumSgprs: 11
; NumVgprs: 8
; ScratchSize: 0
; MemoryBound: 1
; FloatMode: 240
; IeeeMode: 1
; LDSByteSize: 0 bytes/workgroup (compile time only)
; SGPRBlocks: 1
; VGPRBlocks: 1
; NumSGPRsForWavesPerEU: 11
; NumVGPRsForWavesPerEU: 8
; Occupancy: 10
; WaveLimiterHint : 1
; COMPUTE_PGM_RSRC2:SCRATCH_EN: 0
; COMPUTE_PGM_RSRC2:USER_SGPR: 6
; COMPUTE_PGM_RSRC2:TRAP_HANDLER: 0
; COMPUTE_PGM_RSRC2:TGID_X_EN: 1
; COMPUTE_PGM_RSRC2:TGID_Y_EN: 0
; COMPUTE_PGM_RSRC2:TGID_Z_EN: 0
; COMPUTE_PGM_RSRC2:TIDIG_COMP_CNT: 0
	.section	.AMDGPU.gpr_maximums,"",@progbits
	.set amdgpu.max_num_vgpr, 0
	.set amdgpu.max_num_agpr, 0
	.set amdgpu.max_num_sgpr, 0
	.section	.AMDGPU.csdata,"",@progbits
	.type	__hip_cuid_506e67a50552b44a,@object ; @__hip_cuid_506e67a50552b44a
	.section	.bss,"aw",@nobits
	.globl	__hip_cuid_506e67a50552b44a
__hip_cuid_506e67a50552b44a:
	.byte	0                               ; 0x0
	.size	__hip_cuid_506e67a50552b44a, 1

	.ident	"AMD clang version 22.0.0git (https://github.com/RadeonOpenCompute/llvm-project roc-7.2.4 26084 f58b06dce1f9c15707c5f808fd002e18c2accf7e)"
	.section	".note.GNU-stack","",@progbits
	.addrsig
	.addrsig_sym __hip_cuid_506e67a50552b44a
	.amdgpu_metadata
---
amdhsa.kernels:
  - .args:
      - .address_space:  global
        .offset:         0
        .size:           8
        .value_kind:     global_buffer
    .group_segment_fixed_size: 0
    .kernarg_segment_align: 8
    .kernarg_segment_size: 8
    .language:       OpenCL C
    .language_version:
      - 2
      - 0
    .max_flat_workgroup_size: 256
    .name:           _Z17warp_store_kernelILj256ELj4ELj32ELN6hipcub18WarpStoreAlgorithmE0EiEvPT3_
    .private_segment_fixed_size: 0
    .sgpr_count:     11
    .sgpr_spill_count: 0
    .symbol:         _Z17warp_store_kernelILj256ELj4ELj32ELN6hipcub18WarpStoreAlgorithmE0EiEvPT3_.kd
    .uniform_work_group_size: 1
    .uses_dynamic_stack: false
    .vgpr_count:     7
    .vgpr_spill_count: 0
    .wavefront_size: 64
  - .args:
      - .address_space:  global
        .offset:         0
        .size:           8
        .value_kind:     global_buffer
    .group_segment_fixed_size: 0
    .kernarg_segment_align: 8
    .kernarg_segment_size: 8
    .language:       OpenCL C
    .language_version:
      - 2
      - 0
    .max_flat_workgroup_size: 256
    .name:           _Z17warp_store_kernelILj256ELj4ELj32ELN6hipcub18WarpStoreAlgorithmE1EiEvPT3_
    .private_segment_fixed_size: 0
    .sgpr_count:     11
    .sgpr_spill_count: 0
    .symbol:         _Z17warp_store_kernelILj256ELj4ELj32ELN6hipcub18WarpStoreAlgorithmE1EiEvPT3_.kd
    .uniform_work_group_size: 1
    .uses_dynamic_stack: false
    .vgpr_count:     6
    .vgpr_spill_count: 0
    .wavefront_size: 64
  - .args:
      - .address_space:  global
        .offset:         0
        .size:           8
        .value_kind:     global_buffer
    .group_segment_fixed_size: 0
    .kernarg_segment_align: 8
    .kernarg_segment_size: 8
    .language:       OpenCL C
    .language_version:
      - 2
      - 0
    .max_flat_workgroup_size: 256
    .name:           _Z17warp_store_kernelILj256ELj4ELj32ELN6hipcub18WarpStoreAlgorithmE2EiEvPT3_
    .private_segment_fixed_size: 0
    .sgpr_count:     11
    .sgpr_spill_count: 0
    .symbol:         _Z17warp_store_kernelILj256ELj4ELj32ELN6hipcub18WarpStoreAlgorithmE2EiEvPT3_.kd
    .uniform_work_group_size: 1
    .uses_dynamic_stack: false
    .vgpr_count:     7
    .vgpr_spill_count: 0
    .wavefront_size: 64
  - .args:
      - .address_space:  global
        .offset:         0
        .size:           8
        .value_kind:     global_buffer
    .group_segment_fixed_size: 4096
    .kernarg_segment_align: 8
    .kernarg_segment_size: 8
    .language:       OpenCL C
    .language_version:
      - 2
      - 0
    .max_flat_workgroup_size: 256
    .name:           _Z17warp_store_kernelILj256ELj4ELj32ELN6hipcub18WarpStoreAlgorithmE3EiEvPT3_
    .private_segment_fixed_size: 0
    .sgpr_count:     11
    .sgpr_spill_count: 0
    .symbol:         _Z17warp_store_kernelILj256ELj4ELj32ELN6hipcub18WarpStoreAlgorithmE3EiEvPT3_.kd
    .uniform_work_group_size: 1
    .uses_dynamic_stack: false
    .vgpr_count:     9
    .vgpr_spill_count: 0
    .wavefront_size: 64
  - .args:
      - .address_space:  global
        .offset:         0
        .size:           8
        .value_kind:     global_buffer
    .group_segment_fixed_size: 0
    .kernarg_segment_align: 8
    .kernarg_segment_size: 8
    .language:       OpenCL C
    .language_version:
      - 2
      - 0
    .max_flat_workgroup_size: 256
    .name:           _Z17warp_store_kernelILj256ELj8ELj32ELN6hipcub18WarpStoreAlgorithmE0EiEvPT3_
    .private_segment_fixed_size: 0
    .sgpr_count:     11
    .sgpr_spill_count: 0
    .symbol:         _Z17warp_store_kernelILj256ELj8ELj32ELN6hipcub18WarpStoreAlgorithmE0EiEvPT3_.kd
    .uniform_work_group_size: 1
    .uses_dynamic_stack: false
    .vgpr_count:     7
    .vgpr_spill_count: 0
    .wavefront_size: 64
  - .args:
      - .address_space:  global
        .offset:         0
        .size:           8
        .value_kind:     global_buffer
    .group_segment_fixed_size: 0
    .kernarg_segment_align: 8
    .kernarg_segment_size: 8
    .language:       OpenCL C
    .language_version:
      - 2
      - 0
    .max_flat_workgroup_size: 256
    .name:           _Z17warp_store_kernelILj256ELj8ELj32ELN6hipcub18WarpStoreAlgorithmE1EiEvPT3_
    .private_segment_fixed_size: 0
    .sgpr_count:     11
    .sgpr_spill_count: 0
    .symbol:         _Z17warp_store_kernelILj256ELj8ELj32ELN6hipcub18WarpStoreAlgorithmE1EiEvPT3_.kd
    .uniform_work_group_size: 1
    .uses_dynamic_stack: false
    .vgpr_count:     7
    .vgpr_spill_count: 0
    .wavefront_size: 64
  - .args:
      - .address_space:  global
        .offset:         0
        .size:           8
        .value_kind:     global_buffer
    .group_segment_fixed_size: 0
    .kernarg_segment_align: 8
    .kernarg_segment_size: 8
    .language:       OpenCL C
    .language_version:
      - 2
      - 0
    .max_flat_workgroup_size: 256
    .name:           _Z17warp_store_kernelILj256ELj8ELj32ELN6hipcub18WarpStoreAlgorithmE2EiEvPT3_
    .private_segment_fixed_size: 0
    .sgpr_count:     11
    .sgpr_spill_count: 0
    .symbol:         _Z17warp_store_kernelILj256ELj8ELj32ELN6hipcub18WarpStoreAlgorithmE2EiEvPT3_.kd
    .uniform_work_group_size: 1
    .uses_dynamic_stack: false
    .vgpr_count:     7
    .vgpr_spill_count: 0
    .wavefront_size: 64
  - .args:
      - .address_space:  global
        .offset:         0
        .size:           8
        .value_kind:     global_buffer
    .group_segment_fixed_size: 8192
    .kernarg_segment_align: 8
    .kernarg_segment_size: 8
    .language:       OpenCL C
    .language_version:
      - 2
      - 0
    .max_flat_workgroup_size: 256
    .name:           _Z17warp_store_kernelILj256ELj8ELj32ELN6hipcub18WarpStoreAlgorithmE3EiEvPT3_
    .private_segment_fixed_size: 0
    .sgpr_count:     11
    .sgpr_spill_count: 0
    .symbol:         _Z17warp_store_kernelILj256ELj8ELj32ELN6hipcub18WarpStoreAlgorithmE3EiEvPT3_.kd
    .uniform_work_group_size: 1
    .uses_dynamic_stack: false
    .vgpr_count:     11
    .vgpr_spill_count: 0
    .wavefront_size: 64
  - .args:
      - .address_space:  global
        .offset:         0
        .size:           8
        .value_kind:     global_buffer
    .group_segment_fixed_size: 0
    .kernarg_segment_align: 8
    .kernarg_segment_size: 8
    .language:       OpenCL C
    .language_version:
      - 2
      - 0
    .max_flat_workgroup_size: 256
    .name:           _Z17warp_store_kernelILj256ELj16ELj32ELN6hipcub18WarpStoreAlgorithmE0EiEvPT3_
    .private_segment_fixed_size: 0
    .sgpr_count:     11
    .sgpr_spill_count: 0
    .symbol:         _Z17warp_store_kernelILj256ELj16ELj32ELN6hipcub18WarpStoreAlgorithmE0EiEvPT3_.kd
    .uniform_work_group_size: 1
    .uses_dynamic_stack: false
    .vgpr_count:     7
    .vgpr_spill_count: 0
    .wavefront_size: 64
  - .args:
      - .address_space:  global
        .offset:         0
        .size:           8
        .value_kind:     global_buffer
    .group_segment_fixed_size: 0
    .kernarg_segment_align: 8
    .kernarg_segment_size: 8
    .language:       OpenCL C
    .language_version:
      - 2
      - 0
    .max_flat_workgroup_size: 256
    .name:           _Z17warp_store_kernelILj256ELj16ELj32ELN6hipcub18WarpStoreAlgorithmE1EiEvPT3_
    .private_segment_fixed_size: 0
    .sgpr_count:     11
    .sgpr_spill_count: 0
    .symbol:         _Z17warp_store_kernelILj256ELj16ELj32ELN6hipcub18WarpStoreAlgorithmE1EiEvPT3_.kd
    .uniform_work_group_size: 1
    .uses_dynamic_stack: false
    .vgpr_count:     8
    .vgpr_spill_count: 0
    .wavefront_size: 64
  - .args:
      - .address_space:  global
        .offset:         0
        .size:           8
        .value_kind:     global_buffer
    .group_segment_fixed_size: 0
    .kernarg_segment_align: 8
    .kernarg_segment_size: 8
    .language:       OpenCL C
    .language_version:
      - 2
      - 0
    .max_flat_workgroup_size: 256
    .name:           _Z17warp_store_kernelILj256ELj16ELj32ELN6hipcub18WarpStoreAlgorithmE2EiEvPT3_
    .private_segment_fixed_size: 0
    .sgpr_count:     11
    .sgpr_spill_count: 0
    .symbol:         _Z17warp_store_kernelILj256ELj16ELj32ELN6hipcub18WarpStoreAlgorithmE2EiEvPT3_.kd
    .uniform_work_group_size: 1
    .uses_dynamic_stack: false
    .vgpr_count:     7
    .vgpr_spill_count: 0
    .wavefront_size: 64
  - .args:
      - .address_space:  global
        .offset:         0
        .size:           8
        .value_kind:     global_buffer
    .group_segment_fixed_size: 16384
    .kernarg_segment_align: 8
    .kernarg_segment_size: 8
    .language:       OpenCL C
    .language_version:
      - 2
      - 0
    .max_flat_workgroup_size: 256
    .name:           _Z17warp_store_kernelILj256ELj16ELj32ELN6hipcub18WarpStoreAlgorithmE3EiEvPT3_
    .private_segment_fixed_size: 0
    .sgpr_count:     11
    .sgpr_spill_count: 0
    .symbol:         _Z17warp_store_kernelILj256ELj16ELj32ELN6hipcub18WarpStoreAlgorithmE3EiEvPT3_.kd
    .uniform_work_group_size: 1
    .uses_dynamic_stack: false
    .vgpr_count:     19
    .vgpr_spill_count: 0
    .wavefront_size: 64
  - .args:
      - .address_space:  global
        .offset:         0
        .size:           8
        .value_kind:     global_buffer
    .group_segment_fixed_size: 0
    .kernarg_segment_align: 8
    .kernarg_segment_size: 8
    .language:       OpenCL C
    .language_version:
      - 2
      - 0
    .max_flat_workgroup_size: 256
    .name:           _Z17warp_store_kernelILj256ELj32ELj32ELN6hipcub18WarpStoreAlgorithmE0EiEvPT3_
    .private_segment_fixed_size: 0
    .sgpr_count:     11
    .sgpr_spill_count: 0
    .symbol:         _Z17warp_store_kernelILj256ELj32ELj32ELN6hipcub18WarpStoreAlgorithmE0EiEvPT3_.kd
    .uniform_work_group_size: 1
    .uses_dynamic_stack: false
    .vgpr_count:     7
    .vgpr_spill_count: 0
    .wavefront_size: 64
  - .args:
      - .address_space:  global
        .offset:         0
        .size:           8
        .value_kind:     global_buffer
    .group_segment_fixed_size: 0
    .kernarg_segment_align: 8
    .kernarg_segment_size: 8
    .language:       OpenCL C
    .language_version:
      - 2
      - 0
    .max_flat_workgroup_size: 256
    .name:           _Z17warp_store_kernelILj256ELj32ELj32ELN6hipcub18WarpStoreAlgorithmE1EiEvPT3_
    .private_segment_fixed_size: 0
    .sgpr_count:     11
    .sgpr_spill_count: 0
    .symbol:         _Z17warp_store_kernelILj256ELj32ELj32ELN6hipcub18WarpStoreAlgorithmE1EiEvPT3_.kd
    .uniform_work_group_size: 1
    .uses_dynamic_stack: false
    .vgpr_count:     9
    .vgpr_spill_count: 0
    .wavefront_size: 64
  - .args:
      - .address_space:  global
        .offset:         0
        .size:           8
        .value_kind:     global_buffer
    .group_segment_fixed_size: 0
    .kernarg_segment_align: 8
    .kernarg_segment_size: 8
    .language:       OpenCL C
    .language_version:
      - 2
      - 0
    .max_flat_workgroup_size: 256
    .name:           _Z17warp_store_kernelILj256ELj32ELj32ELN6hipcub18WarpStoreAlgorithmE2EiEvPT3_
    .private_segment_fixed_size: 0
    .sgpr_count:     11
    .sgpr_spill_count: 0
    .symbol:         _Z17warp_store_kernelILj256ELj32ELj32ELN6hipcub18WarpStoreAlgorithmE2EiEvPT3_.kd
    .uniform_work_group_size: 1
    .uses_dynamic_stack: false
    .vgpr_count:     7
    .vgpr_spill_count: 0
    .wavefront_size: 64
  - .args:
      - .address_space:  global
        .offset:         0
        .size:           8
        .value_kind:     global_buffer
    .group_segment_fixed_size: 32768
    .kernarg_segment_align: 8
    .kernarg_segment_size: 8
    .language:       OpenCL C
    .language_version:
      - 2
      - 0
    .max_flat_workgroup_size: 256
    .name:           _Z17warp_store_kernelILj256ELj32ELj32ELN6hipcub18WarpStoreAlgorithmE3EiEvPT3_
    .private_segment_fixed_size: 0
    .sgpr_count:     11
    .sgpr_spill_count: 0
    .symbol:         _Z17warp_store_kernelILj256ELj32ELj32ELN6hipcub18WarpStoreAlgorithmE3EiEvPT3_.kd
    .uniform_work_group_size: 1
    .uses_dynamic_stack: false
    .vgpr_count:     35
    .vgpr_spill_count: 0
    .wavefront_size: 64
  - .args:
      - .address_space:  global
        .offset:         0
        .size:           8
        .value_kind:     global_buffer
    .group_segment_fixed_size: 0
    .kernarg_segment_align: 8
    .kernarg_segment_size: 8
    .language:       OpenCL C
    .language_version:
      - 2
      - 0
    .max_flat_workgroup_size: 256
    .name:           _Z17warp_store_kernelILj256ELj64ELj32ELN6hipcub18WarpStoreAlgorithmE0EiEvPT3_
    .private_segment_fixed_size: 0
    .sgpr_count:     11
    .sgpr_spill_count: 0
    .symbol:         _Z17warp_store_kernelILj256ELj64ELj32ELN6hipcub18WarpStoreAlgorithmE0EiEvPT3_.kd
    .uniform_work_group_size: 1
    .uses_dynamic_stack: false
    .vgpr_count:     7
    .vgpr_spill_count: 0
    .wavefront_size: 64
  - .args:
      - .address_space:  global
        .offset:         0
        .size:           8
        .value_kind:     global_buffer
    .group_segment_fixed_size: 0
    .kernarg_segment_align: 8
    .kernarg_segment_size: 8
    .language:       OpenCL C
    .language_version:
      - 2
      - 0
    .max_flat_workgroup_size: 256
    .name:           _Z17warp_store_kernelILj256ELj64ELj32ELN6hipcub18WarpStoreAlgorithmE1EiEvPT3_
    .private_segment_fixed_size: 0
    .sgpr_count:     11
    .sgpr_spill_count: 0
    .symbol:         _Z17warp_store_kernelILj256ELj64ELj32ELN6hipcub18WarpStoreAlgorithmE1EiEvPT3_.kd
    .uniform_work_group_size: 1
    .uses_dynamic_stack: false
    .vgpr_count:     9
    .vgpr_spill_count: 0
    .wavefront_size: 64
  - .args:
      - .address_space:  global
        .offset:         0
        .size:           8
        .value_kind:     global_buffer
    .group_segment_fixed_size: 0
    .kernarg_segment_align: 8
    .kernarg_segment_size: 8
    .language:       OpenCL C
    .language_version:
      - 2
      - 0
    .max_flat_workgroup_size: 256
    .name:           _Z17warp_store_kernelILj256ELj64ELj32ELN6hipcub18WarpStoreAlgorithmE2EiEvPT3_
    .private_segment_fixed_size: 0
    .sgpr_count:     11
    .sgpr_spill_count: 0
    .symbol:         _Z17warp_store_kernelILj256ELj64ELj32ELN6hipcub18WarpStoreAlgorithmE2EiEvPT3_.kd
    .uniform_work_group_size: 1
    .uses_dynamic_stack: false
    .vgpr_count:     7
    .vgpr_spill_count: 0
    .wavefront_size: 64
  - .args:
      - .address_space:  global
        .offset:         0
        .size:           8
        .value_kind:     global_buffer
    .group_segment_fixed_size: 0
    .kernarg_segment_align: 8
    .kernarg_segment_size: 8
    .language:       OpenCL C
    .language_version:
      - 2
      - 0
    .max_flat_workgroup_size: 256
    .name:           _Z17warp_store_kernelILj256ELj4ELj32ELN6hipcub18WarpStoreAlgorithmE0EdEvPT3_
    .private_segment_fixed_size: 0
    .sgpr_count:     11
    .sgpr_spill_count: 0
    .symbol:         _Z17warp_store_kernelILj256ELj4ELj32ELN6hipcub18WarpStoreAlgorithmE0EdEvPT3_.kd
    .uniform_work_group_size: 1
    .uses_dynamic_stack: false
    .vgpr_count:     8
    .vgpr_spill_count: 0
    .wavefront_size: 64
  - .args:
      - .address_space:  global
        .offset:         0
        .size:           8
        .value_kind:     global_buffer
    .group_segment_fixed_size: 0
    .kernarg_segment_align: 8
    .kernarg_segment_size: 8
    .language:       OpenCL C
    .language_version:
      - 2
      - 0
    .max_flat_workgroup_size: 256
    .name:           _Z17warp_store_kernelILj256ELj4ELj32ELN6hipcub18WarpStoreAlgorithmE1EdEvPT3_
    .private_segment_fixed_size: 0
    .sgpr_count:     11
    .sgpr_spill_count: 0
    .symbol:         _Z17warp_store_kernelILj256ELj4ELj32ELN6hipcub18WarpStoreAlgorithmE1EdEvPT3_.kd
    .uniform_work_group_size: 1
    .uses_dynamic_stack: false
    .vgpr_count:     6
    .vgpr_spill_count: 0
    .wavefront_size: 64
  - .args:
      - .address_space:  global
        .offset:         0
        .size:           8
        .value_kind:     global_buffer
    .group_segment_fixed_size: 0
    .kernarg_segment_align: 8
    .kernarg_segment_size: 8
    .language:       OpenCL C
    .language_version:
      - 2
      - 0
    .max_flat_workgroup_size: 256
    .name:           _Z17warp_store_kernelILj256ELj4ELj32ELN6hipcub18WarpStoreAlgorithmE2EdEvPT3_
    .private_segment_fixed_size: 0
    .sgpr_count:     11
    .sgpr_spill_count: 0
    .symbol:         _Z17warp_store_kernelILj256ELj4ELj32ELN6hipcub18WarpStoreAlgorithmE2EdEvPT3_.kd
    .uniform_work_group_size: 1
    .uses_dynamic_stack: false
    .vgpr_count:     8
    .vgpr_spill_count: 0
    .wavefront_size: 64
  - .args:
      - .address_space:  global
        .offset:         0
        .size:           8
        .value_kind:     global_buffer
    .group_segment_fixed_size: 8192
    .kernarg_segment_align: 8
    .kernarg_segment_size: 8
    .language:       OpenCL C
    .language_version:
      - 2
      - 0
    .max_flat_workgroup_size: 256
    .name:           _Z17warp_store_kernelILj256ELj4ELj32ELN6hipcub18WarpStoreAlgorithmE3EdEvPT3_
    .private_segment_fixed_size: 0
    .sgpr_count:     11
    .sgpr_spill_count: 0
    .symbol:         _Z17warp_store_kernelILj256ELj4ELj32ELN6hipcub18WarpStoreAlgorithmE3EdEvPT3_.kd
    .uniform_work_group_size: 1
    .uses_dynamic_stack: false
    .vgpr_count:     11
    .vgpr_spill_count: 0
    .wavefront_size: 64
  - .args:
      - .address_space:  global
        .offset:         0
        .size:           8
        .value_kind:     global_buffer
    .group_segment_fixed_size: 0
    .kernarg_segment_align: 8
    .kernarg_segment_size: 8
    .language:       OpenCL C
    .language_version:
      - 2
      - 0
    .max_flat_workgroup_size: 256
    .name:           _Z17warp_store_kernelILj256ELj8ELj32ELN6hipcub18WarpStoreAlgorithmE0EdEvPT3_
    .private_segment_fixed_size: 0
    .sgpr_count:     11
    .sgpr_spill_count: 0
    .symbol:         _Z17warp_store_kernelILj256ELj8ELj32ELN6hipcub18WarpStoreAlgorithmE0EdEvPT3_.kd
    .uniform_work_group_size: 1
    .uses_dynamic_stack: false
    .vgpr_count:     8
    .vgpr_spill_count: 0
    .wavefront_size: 64
  - .args:
      - .address_space:  global
        .offset:         0
        .size:           8
        .value_kind:     global_buffer
    .group_segment_fixed_size: 0
    .kernarg_segment_align: 8
    .kernarg_segment_size: 8
    .language:       OpenCL C
    .language_version:
      - 2
      - 0
    .max_flat_workgroup_size: 256
    .name:           _Z17warp_store_kernelILj256ELj8ELj32ELN6hipcub18WarpStoreAlgorithmE1EdEvPT3_
    .private_segment_fixed_size: 0
    .sgpr_count:     11
    .sgpr_spill_count: 0
    .symbol:         _Z17warp_store_kernelILj256ELj8ELj32ELN6hipcub18WarpStoreAlgorithmE1EdEvPT3_.kd
    .uniform_work_group_size: 1
    .uses_dynamic_stack: false
    .vgpr_count:     6
    .vgpr_spill_count: 0
    .wavefront_size: 64
  - .args:
      - .address_space:  global
        .offset:         0
        .size:           8
        .value_kind:     global_buffer
    .group_segment_fixed_size: 0
    .kernarg_segment_align: 8
    .kernarg_segment_size: 8
    .language:       OpenCL C
    .language_version:
      - 2
      - 0
    .max_flat_workgroup_size: 256
    .name:           _Z17warp_store_kernelILj256ELj8ELj32ELN6hipcub18WarpStoreAlgorithmE2EdEvPT3_
    .private_segment_fixed_size: 0
    .sgpr_count:     11
    .sgpr_spill_count: 0
    .symbol:         _Z17warp_store_kernelILj256ELj8ELj32ELN6hipcub18WarpStoreAlgorithmE2EdEvPT3_.kd
    .uniform_work_group_size: 1
    .uses_dynamic_stack: false
    .vgpr_count:     8
    .vgpr_spill_count: 0
    .wavefront_size: 64
  - .args:
      - .address_space:  global
        .offset:         0
        .size:           8
        .value_kind:     global_buffer
    .group_segment_fixed_size: 16384
    .kernarg_segment_align: 8
    .kernarg_segment_size: 8
    .language:       OpenCL C
    .language_version:
      - 2
      - 0
    .max_flat_workgroup_size: 256
    .name:           _Z17warp_store_kernelILj256ELj8ELj32ELN6hipcub18WarpStoreAlgorithmE3EdEvPT3_
    .private_segment_fixed_size: 0
    .sgpr_count:     11
    .sgpr_spill_count: 0
    .symbol:         _Z17warp_store_kernelILj256ELj8ELj32ELN6hipcub18WarpStoreAlgorithmE3EdEvPT3_.kd
    .uniform_work_group_size: 1
    .uses_dynamic_stack: false
    .vgpr_count:     19
    .vgpr_spill_count: 0
    .wavefront_size: 64
  - .args:
      - .address_space:  global
        .offset:         0
        .size:           8
        .value_kind:     global_buffer
    .group_segment_fixed_size: 0
    .kernarg_segment_align: 8
    .kernarg_segment_size: 8
    .language:       OpenCL C
    .language_version:
      - 2
      - 0
    .max_flat_workgroup_size: 256
    .name:           _Z17warp_store_kernelILj256ELj16ELj32ELN6hipcub18WarpStoreAlgorithmE0EdEvPT3_
    .private_segment_fixed_size: 0
    .sgpr_count:     11
    .sgpr_spill_count: 0
    .symbol:         _Z17warp_store_kernelILj256ELj16ELj32ELN6hipcub18WarpStoreAlgorithmE0EdEvPT3_.kd
    .uniform_work_group_size: 1
    .uses_dynamic_stack: false
    .vgpr_count:     8
    .vgpr_spill_count: 0
    .wavefront_size: 64
  - .args:
      - .address_space:  global
        .offset:         0
        .size:           8
        .value_kind:     global_buffer
    .group_segment_fixed_size: 0
    .kernarg_segment_align: 8
    .kernarg_segment_size: 8
    .language:       OpenCL C
    .language_version:
      - 2
      - 0
    .max_flat_workgroup_size: 256
    .name:           _Z17warp_store_kernelILj256ELj16ELj32ELN6hipcub18WarpStoreAlgorithmE1EdEvPT3_
    .private_segment_fixed_size: 0
    .sgpr_count:     11
    .sgpr_spill_count: 0
    .symbol:         _Z17warp_store_kernelILj256ELj16ELj32ELN6hipcub18WarpStoreAlgorithmE1EdEvPT3_.kd
    .uniform_work_group_size: 1
    .uses_dynamic_stack: false
    .vgpr_count:     6
    .vgpr_spill_count: 0
    .wavefront_size: 64
  - .args:
      - .address_space:  global
        .offset:         0
        .size:           8
        .value_kind:     global_buffer
    .group_segment_fixed_size: 0
    .kernarg_segment_align: 8
    .kernarg_segment_size: 8
    .language:       OpenCL C
    .language_version:
      - 2
      - 0
    .max_flat_workgroup_size: 256
    .name:           _Z17warp_store_kernelILj256ELj16ELj32ELN6hipcub18WarpStoreAlgorithmE2EdEvPT3_
    .private_segment_fixed_size: 0
    .sgpr_count:     11
    .sgpr_spill_count: 0
    .symbol:         _Z17warp_store_kernelILj256ELj16ELj32ELN6hipcub18WarpStoreAlgorithmE2EdEvPT3_.kd
    .uniform_work_group_size: 1
    .uses_dynamic_stack: false
    .vgpr_count:     8
    .vgpr_spill_count: 0
    .wavefront_size: 64
  - .args:
      - .address_space:  global
        .offset:         0
        .size:           8
        .value_kind:     global_buffer
    .group_segment_fixed_size: 32768
    .kernarg_segment_align: 8
    .kernarg_segment_size: 8
    .language:       OpenCL C
    .language_version:
      - 2
      - 0
    .max_flat_workgroup_size: 256
    .name:           _Z17warp_store_kernelILj256ELj16ELj32ELN6hipcub18WarpStoreAlgorithmE3EdEvPT3_
    .private_segment_fixed_size: 0
    .sgpr_count:     11
    .sgpr_spill_count: 0
    .symbol:         _Z17warp_store_kernelILj256ELj16ELj32ELN6hipcub18WarpStoreAlgorithmE3EdEvPT3_.kd
    .uniform_work_group_size: 1
    .uses_dynamic_stack: false
    .vgpr_count:     35
    .vgpr_spill_count: 0
    .wavefront_size: 64
  - .args:
      - .address_space:  global
        .offset:         0
        .size:           8
        .value_kind:     global_buffer
    .group_segment_fixed_size: 0
    .kernarg_segment_align: 8
    .kernarg_segment_size: 8
    .language:       OpenCL C
    .language_version:
      - 2
      - 0
    .max_flat_workgroup_size: 256
    .name:           _Z17warp_store_kernelILj256ELj32ELj32ELN6hipcub18WarpStoreAlgorithmE0EdEvPT3_
    .private_segment_fixed_size: 0
    .sgpr_count:     11
    .sgpr_spill_count: 0
    .symbol:         _Z17warp_store_kernelILj256ELj32ELj32ELN6hipcub18WarpStoreAlgorithmE0EdEvPT3_.kd
    .uniform_work_group_size: 1
    .uses_dynamic_stack: false
    .vgpr_count:     8
    .vgpr_spill_count: 0
    .wavefront_size: 64
  - .args:
      - .address_space:  global
        .offset:         0
        .size:           8
        .value_kind:     global_buffer
    .group_segment_fixed_size: 0
    .kernarg_segment_align: 8
    .kernarg_segment_size: 8
    .language:       OpenCL C
    .language_version:
      - 2
      - 0
    .max_flat_workgroup_size: 256
    .name:           _Z17warp_store_kernelILj256ELj32ELj32ELN6hipcub18WarpStoreAlgorithmE1EdEvPT3_
    .private_segment_fixed_size: 0
    .sgpr_count:     11
    .sgpr_spill_count: 0
    .symbol:         _Z17warp_store_kernelILj256ELj32ELj32ELN6hipcub18WarpStoreAlgorithmE1EdEvPT3_.kd
    .uniform_work_group_size: 1
    .uses_dynamic_stack: false
    .vgpr_count:     6
    .vgpr_spill_count: 0
    .wavefront_size: 64
  - .args:
      - .address_space:  global
        .offset:         0
        .size:           8
        .value_kind:     global_buffer
    .group_segment_fixed_size: 0
    .kernarg_segment_align: 8
    .kernarg_segment_size: 8
    .language:       OpenCL C
    .language_version:
      - 2
      - 0
    .max_flat_workgroup_size: 256
    .name:           _Z17warp_store_kernelILj256ELj32ELj32ELN6hipcub18WarpStoreAlgorithmE2EdEvPT3_
    .private_segment_fixed_size: 0
    .sgpr_count:     11
    .sgpr_spill_count: 0
    .symbol:         _Z17warp_store_kernelILj256ELj32ELj32ELN6hipcub18WarpStoreAlgorithmE2EdEvPT3_.kd
    .uniform_work_group_size: 1
    .uses_dynamic_stack: false
    .vgpr_count:     8
    .vgpr_spill_count: 0
    .wavefront_size: 64
  - .args:
      - .address_space:  global
        .offset:         0
        .size:           8
        .value_kind:     global_buffer
    .group_segment_fixed_size: 0
    .kernarg_segment_align: 8
    .kernarg_segment_size: 8
    .language:       OpenCL C
    .language_version:
      - 2
      - 0
    .max_flat_workgroup_size: 256
    .name:           _Z17warp_store_kernelILj256ELj64ELj32ELN6hipcub18WarpStoreAlgorithmE0EdEvPT3_
    .private_segment_fixed_size: 0
    .sgpr_count:     11
    .sgpr_spill_count: 0
    .symbol:         _Z17warp_store_kernelILj256ELj64ELj32ELN6hipcub18WarpStoreAlgorithmE0EdEvPT3_.kd
    .uniform_work_group_size: 1
    .uses_dynamic_stack: false
    .vgpr_count:     8
    .vgpr_spill_count: 0
    .wavefront_size: 64
  - .args:
      - .address_space:  global
        .offset:         0
        .size:           8
        .value_kind:     global_buffer
    .group_segment_fixed_size: 0
    .kernarg_segment_align: 8
    .kernarg_segment_size: 8
    .language:       OpenCL C
    .language_version:
      - 2
      - 0
    .max_flat_workgroup_size: 256
    .name:           _Z17warp_store_kernelILj256ELj64ELj32ELN6hipcub18WarpStoreAlgorithmE1EdEvPT3_
    .private_segment_fixed_size: 0
    .sgpr_count:     11
    .sgpr_spill_count: 0
    .symbol:         _Z17warp_store_kernelILj256ELj64ELj32ELN6hipcub18WarpStoreAlgorithmE1EdEvPT3_.kd
    .uniform_work_group_size: 1
    .uses_dynamic_stack: false
    .vgpr_count:     10
    .vgpr_spill_count: 0
    .wavefront_size: 64
  - .args:
      - .address_space:  global
        .offset:         0
        .size:           8
        .value_kind:     global_buffer
    .group_segment_fixed_size: 0
    .kernarg_segment_align: 8
    .kernarg_segment_size: 8
    .language:       OpenCL C
    .language_version:
      - 2
      - 0
    .max_flat_workgroup_size: 256
    .name:           _Z17warp_store_kernelILj256ELj64ELj32ELN6hipcub18WarpStoreAlgorithmE2EdEvPT3_
    .private_segment_fixed_size: 0
    .sgpr_count:     11
    .sgpr_spill_count: 0
    .symbol:         _Z17warp_store_kernelILj256ELj64ELj32ELN6hipcub18WarpStoreAlgorithmE2EdEvPT3_.kd
    .uniform_work_group_size: 1
    .uses_dynamic_stack: false
    .vgpr_count:     8
    .vgpr_spill_count: 0
    .wavefront_size: 64
  - .args:
      - .address_space:  global
        .offset:         0
        .size:           8
        .value_kind:     global_buffer
    .group_segment_fixed_size: 0
    .kernarg_segment_align: 8
    .kernarg_segment_size: 8
    .language:       OpenCL C
    .language_version:
      - 2
      - 0
    .max_flat_workgroup_size: 256
    .name:           _Z17warp_store_kernelILj256ELj4ELj64ELN6hipcub18WarpStoreAlgorithmE0EiEvPT3_
    .private_segment_fixed_size: 0
    .sgpr_count:     11
    .sgpr_spill_count: 0
    .symbol:         _Z17warp_store_kernelILj256ELj4ELj64ELN6hipcub18WarpStoreAlgorithmE0EiEvPT3_.kd
    .uniform_work_group_size: 1
    .uses_dynamic_stack: false
    .vgpr_count:     7
    .vgpr_spill_count: 0
    .wavefront_size: 64
  - .args:
      - .address_space:  global
        .offset:         0
        .size:           8
        .value_kind:     global_buffer
    .group_segment_fixed_size: 0
    .kernarg_segment_align: 8
    .kernarg_segment_size: 8
    .language:       OpenCL C
    .language_version:
      - 2
      - 0
    .max_flat_workgroup_size: 256
    .name:           _Z17warp_store_kernelILj256ELj4ELj64ELN6hipcub18WarpStoreAlgorithmE1EiEvPT3_
    .private_segment_fixed_size: 0
    .sgpr_count:     11
    .sgpr_spill_count: 0
    .symbol:         _Z17warp_store_kernelILj256ELj4ELj64ELN6hipcub18WarpStoreAlgorithmE1EiEvPT3_.kd
    .uniform_work_group_size: 1
    .uses_dynamic_stack: false
    .vgpr_count:     6
    .vgpr_spill_count: 0
    .wavefront_size: 64
  - .args:
      - .address_space:  global
        .offset:         0
        .size:           8
        .value_kind:     global_buffer
    .group_segment_fixed_size: 0
    .kernarg_segment_align: 8
    .kernarg_segment_size: 8
    .language:       OpenCL C
    .language_version:
      - 2
      - 0
    .max_flat_workgroup_size: 256
    .name:           _Z17warp_store_kernelILj256ELj4ELj64ELN6hipcub18WarpStoreAlgorithmE2EiEvPT3_
    .private_segment_fixed_size: 0
    .sgpr_count:     11
    .sgpr_spill_count: 0
    .symbol:         _Z17warp_store_kernelILj256ELj4ELj64ELN6hipcub18WarpStoreAlgorithmE2EiEvPT3_.kd
    .uniform_work_group_size: 1
    .uses_dynamic_stack: false
    .vgpr_count:     7
    .vgpr_spill_count: 0
    .wavefront_size: 64
  - .args:
      - .address_space:  global
        .offset:         0
        .size:           8
        .value_kind:     global_buffer
    .group_segment_fixed_size: 4096
    .kernarg_segment_align: 8
    .kernarg_segment_size: 8
    .language:       OpenCL C
    .language_version:
      - 2
      - 0
    .max_flat_workgroup_size: 256
    .name:           _Z17warp_store_kernelILj256ELj4ELj64ELN6hipcub18WarpStoreAlgorithmE3EiEvPT3_
    .private_segment_fixed_size: 0
    .sgpr_count:     11
    .sgpr_spill_count: 0
    .symbol:         _Z17warp_store_kernelILj256ELj4ELj64ELN6hipcub18WarpStoreAlgorithmE3EiEvPT3_.kd
    .uniform_work_group_size: 1
    .uses_dynamic_stack: false
    .vgpr_count:     11
    .vgpr_spill_count: 0
    .wavefront_size: 64
  - .args:
      - .address_space:  global
        .offset:         0
        .size:           8
        .value_kind:     global_buffer
    .group_segment_fixed_size: 0
    .kernarg_segment_align: 8
    .kernarg_segment_size: 8
    .language:       OpenCL C
    .language_version:
      - 2
      - 0
    .max_flat_workgroup_size: 256
    .name:           _Z17warp_store_kernelILj256ELj8ELj64ELN6hipcub18WarpStoreAlgorithmE0EiEvPT3_
    .private_segment_fixed_size: 0
    .sgpr_count:     11
    .sgpr_spill_count: 0
    .symbol:         _Z17warp_store_kernelILj256ELj8ELj64ELN6hipcub18WarpStoreAlgorithmE0EiEvPT3_.kd
    .uniform_work_group_size: 1
    .uses_dynamic_stack: false
    .vgpr_count:     7
    .vgpr_spill_count: 0
    .wavefront_size: 64
  - .args:
      - .address_space:  global
        .offset:         0
        .size:           8
        .value_kind:     global_buffer
    .group_segment_fixed_size: 0
    .kernarg_segment_align: 8
    .kernarg_segment_size: 8
    .language:       OpenCL C
    .language_version:
      - 2
      - 0
    .max_flat_workgroup_size: 256
    .name:           _Z17warp_store_kernelILj256ELj8ELj64ELN6hipcub18WarpStoreAlgorithmE1EiEvPT3_
    .private_segment_fixed_size: 0
    .sgpr_count:     11
    .sgpr_spill_count: 0
    .symbol:         _Z17warp_store_kernelILj256ELj8ELj64ELN6hipcub18WarpStoreAlgorithmE1EiEvPT3_.kd
    .uniform_work_group_size: 1
    .uses_dynamic_stack: false
    .vgpr_count:     8
    .vgpr_spill_count: 0
    .wavefront_size: 64
  - .args:
      - .address_space:  global
        .offset:         0
        .size:           8
        .value_kind:     global_buffer
    .group_segment_fixed_size: 0
    .kernarg_segment_align: 8
    .kernarg_segment_size: 8
    .language:       OpenCL C
    .language_version:
      - 2
      - 0
    .max_flat_workgroup_size: 256
    .name:           _Z17warp_store_kernelILj256ELj8ELj64ELN6hipcub18WarpStoreAlgorithmE2EiEvPT3_
    .private_segment_fixed_size: 0
    .sgpr_count:     11
    .sgpr_spill_count: 0
    .symbol:         _Z17warp_store_kernelILj256ELj8ELj64ELN6hipcub18WarpStoreAlgorithmE2EiEvPT3_.kd
    .uniform_work_group_size: 1
    .uses_dynamic_stack: false
    .vgpr_count:     7
    .vgpr_spill_count: 0
    .wavefront_size: 64
  - .args:
      - .address_space:  global
        .offset:         0
        .size:           8
        .value_kind:     global_buffer
    .group_segment_fixed_size: 8192
    .kernarg_segment_align: 8
    .kernarg_segment_size: 8
    .language:       OpenCL C
    .language_version:
      - 2
      - 0
    .max_flat_workgroup_size: 256
    .name:           _Z17warp_store_kernelILj256ELj8ELj64ELN6hipcub18WarpStoreAlgorithmE3EiEvPT3_
    .private_segment_fixed_size: 0
    .sgpr_count:     11
    .sgpr_spill_count: 0
    .symbol:         _Z17warp_store_kernelILj256ELj8ELj64ELN6hipcub18WarpStoreAlgorithmE3EiEvPT3_.kd
    .uniform_work_group_size: 1
    .uses_dynamic_stack: false
    .vgpr_count:     12
    .vgpr_spill_count: 0
    .wavefront_size: 64
  - .args:
      - .address_space:  global
        .offset:         0
        .size:           8
        .value_kind:     global_buffer
    .group_segment_fixed_size: 0
    .kernarg_segment_align: 8
    .kernarg_segment_size: 8
    .language:       OpenCL C
    .language_version:
      - 2
      - 0
    .max_flat_workgroup_size: 256
    .name:           _Z17warp_store_kernelILj256ELj16ELj64ELN6hipcub18WarpStoreAlgorithmE0EiEvPT3_
    .private_segment_fixed_size: 0
    .sgpr_count:     11
    .sgpr_spill_count: 0
    .symbol:         _Z17warp_store_kernelILj256ELj16ELj64ELN6hipcub18WarpStoreAlgorithmE0EiEvPT3_.kd
    .uniform_work_group_size: 1
    .uses_dynamic_stack: false
    .vgpr_count:     7
    .vgpr_spill_count: 0
    .wavefront_size: 64
  - .args:
      - .address_space:  global
        .offset:         0
        .size:           8
        .value_kind:     global_buffer
    .group_segment_fixed_size: 0
    .kernarg_segment_align: 8
    .kernarg_segment_size: 8
    .language:       OpenCL C
    .language_version:
      - 2
      - 0
    .max_flat_workgroup_size: 256
    .name:           _Z17warp_store_kernelILj256ELj16ELj64ELN6hipcub18WarpStoreAlgorithmE1EiEvPT3_
    .private_segment_fixed_size: 0
    .sgpr_count:     11
    .sgpr_spill_count: 0
    .symbol:         _Z17warp_store_kernelILj256ELj16ELj64ELN6hipcub18WarpStoreAlgorithmE1EiEvPT3_.kd
    .uniform_work_group_size: 1
    .uses_dynamic_stack: false
    .vgpr_count:     9
    .vgpr_spill_count: 0
    .wavefront_size: 64
  - .args:
      - .address_space:  global
        .offset:         0
        .size:           8
        .value_kind:     global_buffer
    .group_segment_fixed_size: 0
    .kernarg_segment_align: 8
    .kernarg_segment_size: 8
    .language:       OpenCL C
    .language_version:
      - 2
      - 0
    .max_flat_workgroup_size: 256
    .name:           _Z17warp_store_kernelILj256ELj16ELj64ELN6hipcub18WarpStoreAlgorithmE2EiEvPT3_
    .private_segment_fixed_size: 0
    .sgpr_count:     11
    .sgpr_spill_count: 0
    .symbol:         _Z17warp_store_kernelILj256ELj16ELj64ELN6hipcub18WarpStoreAlgorithmE2EiEvPT3_.kd
    .uniform_work_group_size: 1
    .uses_dynamic_stack: false
    .vgpr_count:     7
    .vgpr_spill_count: 0
    .wavefront_size: 64
  - .args:
      - .address_space:  global
        .offset:         0
        .size:           8
        .value_kind:     global_buffer
    .group_segment_fixed_size: 16384
    .kernarg_segment_align: 8
    .kernarg_segment_size: 8
    .language:       OpenCL C
    .language_version:
      - 2
      - 0
    .max_flat_workgroup_size: 256
    .name:           _Z17warp_store_kernelILj256ELj16ELj64ELN6hipcub18WarpStoreAlgorithmE3EiEvPT3_
    .private_segment_fixed_size: 0
    .sgpr_count:     11
    .sgpr_spill_count: 0
    .symbol:         _Z17warp_store_kernelILj256ELj16ELj64ELN6hipcub18WarpStoreAlgorithmE3EiEvPT3_.kd
    .uniform_work_group_size: 1
    .uses_dynamic_stack: false
    .vgpr_count:     20
    .vgpr_spill_count: 0
    .wavefront_size: 64
  - .args:
      - .address_space:  global
        .offset:         0
        .size:           8
        .value_kind:     global_buffer
    .group_segment_fixed_size: 0
    .kernarg_segment_align: 8
    .kernarg_segment_size: 8
    .language:       OpenCL C
    .language_version:
      - 2
      - 0
    .max_flat_workgroup_size: 256
    .name:           _Z17warp_store_kernelILj256ELj32ELj64ELN6hipcub18WarpStoreAlgorithmE0EiEvPT3_
    .private_segment_fixed_size: 0
    .sgpr_count:     11
    .sgpr_spill_count: 0
    .symbol:         _Z17warp_store_kernelILj256ELj32ELj64ELN6hipcub18WarpStoreAlgorithmE0EiEvPT3_.kd
    .uniform_work_group_size: 1
    .uses_dynamic_stack: false
    .vgpr_count:     7
    .vgpr_spill_count: 0
    .wavefront_size: 64
  - .args:
      - .address_space:  global
        .offset:         0
        .size:           8
        .value_kind:     global_buffer
    .group_segment_fixed_size: 0
    .kernarg_segment_align: 8
    .kernarg_segment_size: 8
    .language:       OpenCL C
    .language_version:
      - 2
      - 0
    .max_flat_workgroup_size: 256
    .name:           _Z17warp_store_kernelILj256ELj32ELj64ELN6hipcub18WarpStoreAlgorithmE1EiEvPT3_
    .private_segment_fixed_size: 0
    .sgpr_count:     11
    .sgpr_spill_count: 0
    .symbol:         _Z17warp_store_kernelILj256ELj32ELj64ELN6hipcub18WarpStoreAlgorithmE1EiEvPT3_.kd
    .uniform_work_group_size: 1
    .uses_dynamic_stack: false
    .vgpr_count:     9
    .vgpr_spill_count: 0
    .wavefront_size: 64
  - .args:
      - .address_space:  global
        .offset:         0
        .size:           8
        .value_kind:     global_buffer
    .group_segment_fixed_size: 0
    .kernarg_segment_align: 8
    .kernarg_segment_size: 8
    .language:       OpenCL C
    .language_version:
      - 2
      - 0
    .max_flat_workgroup_size: 256
    .name:           _Z17warp_store_kernelILj256ELj32ELj64ELN6hipcub18WarpStoreAlgorithmE2EiEvPT3_
    .private_segment_fixed_size: 0
    .sgpr_count:     11
    .sgpr_spill_count: 0
    .symbol:         _Z17warp_store_kernelILj256ELj32ELj64ELN6hipcub18WarpStoreAlgorithmE2EiEvPT3_.kd
    .uniform_work_group_size: 1
    .uses_dynamic_stack: false
    .vgpr_count:     7
    .vgpr_spill_count: 0
    .wavefront_size: 64
  - .args:
      - .address_space:  global
        .offset:         0
        .size:           8
        .value_kind:     global_buffer
    .group_segment_fixed_size: 32768
    .kernarg_segment_align: 8
    .kernarg_segment_size: 8
    .language:       OpenCL C
    .language_version:
      - 2
      - 0
    .max_flat_workgroup_size: 256
    .name:           _Z17warp_store_kernelILj256ELj32ELj64ELN6hipcub18WarpStoreAlgorithmE3EiEvPT3_
    .private_segment_fixed_size: 0
    .sgpr_count:     11
    .sgpr_spill_count: 0
    .symbol:         _Z17warp_store_kernelILj256ELj32ELj64ELN6hipcub18WarpStoreAlgorithmE3EiEvPT3_.kd
    .uniform_work_group_size: 1
    .uses_dynamic_stack: false
    .vgpr_count:     36
    .vgpr_spill_count: 0
    .wavefront_size: 64
  - .args:
      - .address_space:  global
        .offset:         0
        .size:           8
        .value_kind:     global_buffer
    .group_segment_fixed_size: 0
    .kernarg_segment_align: 8
    .kernarg_segment_size: 8
    .language:       OpenCL C
    .language_version:
      - 2
      - 0
    .max_flat_workgroup_size: 256
    .name:           _Z17warp_store_kernelILj256ELj64ELj64ELN6hipcub18WarpStoreAlgorithmE0EiEvPT3_
    .private_segment_fixed_size: 0
    .sgpr_count:     11
    .sgpr_spill_count: 0
    .symbol:         _Z17warp_store_kernelILj256ELj64ELj64ELN6hipcub18WarpStoreAlgorithmE0EiEvPT3_.kd
    .uniform_work_group_size: 1
    .uses_dynamic_stack: false
    .vgpr_count:     7
    .vgpr_spill_count: 0
    .wavefront_size: 64
  - .args:
      - .address_space:  global
        .offset:         0
        .size:           8
        .value_kind:     global_buffer
    .group_segment_fixed_size: 0
    .kernarg_segment_align: 8
    .kernarg_segment_size: 8
    .language:       OpenCL C
    .language_version:
      - 2
      - 0
    .max_flat_workgroup_size: 256
    .name:           _Z17warp_store_kernelILj256ELj64ELj64ELN6hipcub18WarpStoreAlgorithmE1EiEvPT3_
    .private_segment_fixed_size: 0
    .sgpr_count:     11
    .sgpr_spill_count: 0
    .symbol:         _Z17warp_store_kernelILj256ELj64ELj64ELN6hipcub18WarpStoreAlgorithmE1EiEvPT3_.kd
    .uniform_work_group_size: 1
    .uses_dynamic_stack: false
    .vgpr_count:     9
    .vgpr_spill_count: 0
    .wavefront_size: 64
  - .args:
      - .address_space:  global
        .offset:         0
        .size:           8
        .value_kind:     global_buffer
    .group_segment_fixed_size: 0
    .kernarg_segment_align: 8
    .kernarg_segment_size: 8
    .language:       OpenCL C
    .language_version:
      - 2
      - 0
    .max_flat_workgroup_size: 256
    .name:           _Z17warp_store_kernelILj256ELj64ELj64ELN6hipcub18WarpStoreAlgorithmE2EiEvPT3_
    .private_segment_fixed_size: 0
    .sgpr_count:     11
    .sgpr_spill_count: 0
    .symbol:         _Z17warp_store_kernelILj256ELj64ELj64ELN6hipcub18WarpStoreAlgorithmE2EiEvPT3_.kd
    .uniform_work_group_size: 1
    .uses_dynamic_stack: false
    .vgpr_count:     7
    .vgpr_spill_count: 0
    .wavefront_size: 64
  - .args:
      - .address_space:  global
        .offset:         0
        .size:           8
        .value_kind:     global_buffer
    .group_segment_fixed_size: 0
    .kernarg_segment_align: 8
    .kernarg_segment_size: 8
    .language:       OpenCL C
    .language_version:
      - 2
      - 0
    .max_flat_workgroup_size: 256
    .name:           _Z17warp_store_kernelILj256ELj4ELj64ELN6hipcub18WarpStoreAlgorithmE0EdEvPT3_
    .private_segment_fixed_size: 0
    .sgpr_count:     11
    .sgpr_spill_count: 0
    .symbol:         _Z17warp_store_kernelILj256ELj4ELj64ELN6hipcub18WarpStoreAlgorithmE0EdEvPT3_.kd
    .uniform_work_group_size: 1
    .uses_dynamic_stack: false
    .vgpr_count:     8
    .vgpr_spill_count: 0
    .wavefront_size: 64
  - .args:
      - .address_space:  global
        .offset:         0
        .size:           8
        .value_kind:     global_buffer
    .group_segment_fixed_size: 0
    .kernarg_segment_align: 8
    .kernarg_segment_size: 8
    .language:       OpenCL C
    .language_version:
      - 2
      - 0
    .max_flat_workgroup_size: 256
    .name:           _Z17warp_store_kernelILj256ELj4ELj64ELN6hipcub18WarpStoreAlgorithmE1EdEvPT3_
    .private_segment_fixed_size: 0
    .sgpr_count:     11
    .sgpr_spill_count: 0
    .symbol:         _Z17warp_store_kernelILj256ELj4ELj64ELN6hipcub18WarpStoreAlgorithmE1EdEvPT3_.kd
    .uniform_work_group_size: 1
    .uses_dynamic_stack: false
    .vgpr_count:     6
    .vgpr_spill_count: 0
    .wavefront_size: 64
  - .args:
      - .address_space:  global
        .offset:         0
        .size:           8
        .value_kind:     global_buffer
    .group_segment_fixed_size: 0
    .kernarg_segment_align: 8
    .kernarg_segment_size: 8
    .language:       OpenCL C
    .language_version:
      - 2
      - 0
    .max_flat_workgroup_size: 256
    .name:           _Z17warp_store_kernelILj256ELj4ELj64ELN6hipcub18WarpStoreAlgorithmE2EdEvPT3_
    .private_segment_fixed_size: 0
    .sgpr_count:     11
    .sgpr_spill_count: 0
    .symbol:         _Z17warp_store_kernelILj256ELj4ELj64ELN6hipcub18WarpStoreAlgorithmE2EdEvPT3_.kd
    .uniform_work_group_size: 1
    .uses_dynamic_stack: false
    .vgpr_count:     8
    .vgpr_spill_count: 0
    .wavefront_size: 64
  - .args:
      - .address_space:  global
        .offset:         0
        .size:           8
        .value_kind:     global_buffer
    .group_segment_fixed_size: 8192
    .kernarg_segment_align: 8
    .kernarg_segment_size: 8
    .language:       OpenCL C
    .language_version:
      - 2
      - 0
    .max_flat_workgroup_size: 256
    .name:           _Z17warp_store_kernelILj256ELj4ELj64ELN6hipcub18WarpStoreAlgorithmE3EdEvPT3_
    .private_segment_fixed_size: 0
    .sgpr_count:     11
    .sgpr_spill_count: 0
    .symbol:         _Z17warp_store_kernelILj256ELj4ELj64ELN6hipcub18WarpStoreAlgorithmE3EdEvPT3_.kd
    .uniform_work_group_size: 1
    .uses_dynamic_stack: false
    .vgpr_count:     12
    .vgpr_spill_count: 0
    .wavefront_size: 64
  - .args:
      - .address_space:  global
        .offset:         0
        .size:           8
        .value_kind:     global_buffer
    .group_segment_fixed_size: 0
    .kernarg_segment_align: 8
    .kernarg_segment_size: 8
    .language:       OpenCL C
    .language_version:
      - 2
      - 0
    .max_flat_workgroup_size: 256
    .name:           _Z17warp_store_kernelILj256ELj8ELj64ELN6hipcub18WarpStoreAlgorithmE0EdEvPT3_
    .private_segment_fixed_size: 0
    .sgpr_count:     11
    .sgpr_spill_count: 0
    .symbol:         _Z17warp_store_kernelILj256ELj8ELj64ELN6hipcub18WarpStoreAlgorithmE0EdEvPT3_.kd
    .uniform_work_group_size: 1
    .uses_dynamic_stack: false
    .vgpr_count:     8
    .vgpr_spill_count: 0
    .wavefront_size: 64
  - .args:
      - .address_space:  global
        .offset:         0
        .size:           8
        .value_kind:     global_buffer
    .group_segment_fixed_size: 0
    .kernarg_segment_align: 8
    .kernarg_segment_size: 8
    .language:       OpenCL C
    .language_version:
      - 2
      - 0
    .max_flat_workgroup_size: 256
    .name:           _Z17warp_store_kernelILj256ELj8ELj64ELN6hipcub18WarpStoreAlgorithmE1EdEvPT3_
    .private_segment_fixed_size: 0
    .sgpr_count:     11
    .sgpr_spill_count: 0
    .symbol:         _Z17warp_store_kernelILj256ELj8ELj64ELN6hipcub18WarpStoreAlgorithmE1EdEvPT3_.kd
    .uniform_work_group_size: 1
    .uses_dynamic_stack: false
    .vgpr_count:     6
    .vgpr_spill_count: 0
    .wavefront_size: 64
  - .args:
      - .address_space:  global
        .offset:         0
        .size:           8
        .value_kind:     global_buffer
    .group_segment_fixed_size: 0
    .kernarg_segment_align: 8
    .kernarg_segment_size: 8
    .language:       OpenCL C
    .language_version:
      - 2
      - 0
    .max_flat_workgroup_size: 256
    .name:           _Z17warp_store_kernelILj256ELj8ELj64ELN6hipcub18WarpStoreAlgorithmE2EdEvPT3_
    .private_segment_fixed_size: 0
    .sgpr_count:     11
    .sgpr_spill_count: 0
    .symbol:         _Z17warp_store_kernelILj256ELj8ELj64ELN6hipcub18WarpStoreAlgorithmE2EdEvPT3_.kd
    .uniform_work_group_size: 1
    .uses_dynamic_stack: false
    .vgpr_count:     8
    .vgpr_spill_count: 0
    .wavefront_size: 64
  - .args:
      - .address_space:  global
        .offset:         0
        .size:           8
        .value_kind:     global_buffer
    .group_segment_fixed_size: 16384
    .kernarg_segment_align: 8
    .kernarg_segment_size: 8
    .language:       OpenCL C
    .language_version:
      - 2
      - 0
    .max_flat_workgroup_size: 256
    .name:           _Z17warp_store_kernelILj256ELj8ELj64ELN6hipcub18WarpStoreAlgorithmE3EdEvPT3_
    .private_segment_fixed_size: 0
    .sgpr_count:     11
    .sgpr_spill_count: 0
    .symbol:         _Z17warp_store_kernelILj256ELj8ELj64ELN6hipcub18WarpStoreAlgorithmE3EdEvPT3_.kd
    .uniform_work_group_size: 1
    .uses_dynamic_stack: false
    .vgpr_count:     20
    .vgpr_spill_count: 0
    .wavefront_size: 64
  - .args:
      - .address_space:  global
        .offset:         0
        .size:           8
        .value_kind:     global_buffer
    .group_segment_fixed_size: 0
    .kernarg_segment_align: 8
    .kernarg_segment_size: 8
    .language:       OpenCL C
    .language_version:
      - 2
      - 0
    .max_flat_workgroup_size: 256
    .name:           _Z17warp_store_kernelILj256ELj16ELj64ELN6hipcub18WarpStoreAlgorithmE0EdEvPT3_
    .private_segment_fixed_size: 0
    .sgpr_count:     11
    .sgpr_spill_count: 0
    .symbol:         _Z17warp_store_kernelILj256ELj16ELj64ELN6hipcub18WarpStoreAlgorithmE0EdEvPT3_.kd
    .uniform_work_group_size: 1
    .uses_dynamic_stack: false
    .vgpr_count:     8
    .vgpr_spill_count: 0
    .wavefront_size: 64
  - .args:
      - .address_space:  global
        .offset:         0
        .size:           8
        .value_kind:     global_buffer
    .group_segment_fixed_size: 0
    .kernarg_segment_align: 8
    .kernarg_segment_size: 8
    .language:       OpenCL C
    .language_version:
      - 2
      - 0
    .max_flat_workgroup_size: 256
    .name:           _Z17warp_store_kernelILj256ELj16ELj64ELN6hipcub18WarpStoreAlgorithmE1EdEvPT3_
    .private_segment_fixed_size: 0
    .sgpr_count:     11
    .sgpr_spill_count: 0
    .symbol:         _Z17warp_store_kernelILj256ELj16ELj64ELN6hipcub18WarpStoreAlgorithmE1EdEvPT3_.kd
    .uniform_work_group_size: 1
    .uses_dynamic_stack: false
    .vgpr_count:     6
    .vgpr_spill_count: 0
    .wavefront_size: 64
  - .args:
      - .address_space:  global
        .offset:         0
        .size:           8
        .value_kind:     global_buffer
    .group_segment_fixed_size: 0
    .kernarg_segment_align: 8
    .kernarg_segment_size: 8
    .language:       OpenCL C
    .language_version:
      - 2
      - 0
    .max_flat_workgroup_size: 256
    .name:           _Z17warp_store_kernelILj256ELj16ELj64ELN6hipcub18WarpStoreAlgorithmE2EdEvPT3_
    .private_segment_fixed_size: 0
    .sgpr_count:     11
    .sgpr_spill_count: 0
    .symbol:         _Z17warp_store_kernelILj256ELj16ELj64ELN6hipcub18WarpStoreAlgorithmE2EdEvPT3_.kd
    .uniform_work_group_size: 1
    .uses_dynamic_stack: false
    .vgpr_count:     8
    .vgpr_spill_count: 0
    .wavefront_size: 64
  - .args:
      - .address_space:  global
        .offset:         0
        .size:           8
        .value_kind:     global_buffer
    .group_segment_fixed_size: 0
    .kernarg_segment_align: 8
    .kernarg_segment_size: 8
    .language:       OpenCL C
    .language_version:
      - 2
      - 0
    .max_flat_workgroup_size: 256
    .name:           _Z17warp_store_kernelILj256ELj32ELj64ELN6hipcub18WarpStoreAlgorithmE0EdEvPT3_
    .private_segment_fixed_size: 0
    .sgpr_count:     11
    .sgpr_spill_count: 0
    .symbol:         _Z17warp_store_kernelILj256ELj32ELj64ELN6hipcub18WarpStoreAlgorithmE0EdEvPT3_.kd
    .uniform_work_group_size: 1
    .uses_dynamic_stack: false
    .vgpr_count:     8
    .vgpr_spill_count: 0
    .wavefront_size: 64
  - .args:
      - .address_space:  global
        .offset:         0
        .size:           8
        .value_kind:     global_buffer
    .group_segment_fixed_size: 0
    .kernarg_segment_align: 8
    .kernarg_segment_size: 8
    .language:       OpenCL C
    .language_version:
      - 2
      - 0
    .max_flat_workgroup_size: 256
    .name:           _Z17warp_store_kernelILj256ELj32ELj64ELN6hipcub18WarpStoreAlgorithmE1EdEvPT3_
    .private_segment_fixed_size: 0
    .sgpr_count:     11
    .sgpr_spill_count: 0
    .symbol:         _Z17warp_store_kernelILj256ELj32ELj64ELN6hipcub18WarpStoreAlgorithmE1EdEvPT3_.kd
    .uniform_work_group_size: 1
    .uses_dynamic_stack: false
    .vgpr_count:     10
    .vgpr_spill_count: 0
    .wavefront_size: 64
  - .args:
      - .address_space:  global
        .offset:         0
        .size:           8
        .value_kind:     global_buffer
    .group_segment_fixed_size: 0
    .kernarg_segment_align: 8
    .kernarg_segment_size: 8
    .language:       OpenCL C
    .language_version:
      - 2
      - 0
    .max_flat_workgroup_size: 256
    .name:           _Z17warp_store_kernelILj256ELj32ELj64ELN6hipcub18WarpStoreAlgorithmE2EdEvPT3_
    .private_segment_fixed_size: 0
    .sgpr_count:     11
    .sgpr_spill_count: 0
    .symbol:         _Z17warp_store_kernelILj256ELj32ELj64ELN6hipcub18WarpStoreAlgorithmE2EdEvPT3_.kd
    .uniform_work_group_size: 1
    .uses_dynamic_stack: false
    .vgpr_count:     8
    .vgpr_spill_count: 0
    .wavefront_size: 64
  - .args:
      - .address_space:  global
        .offset:         0
        .size:           8
        .value_kind:     global_buffer
    .group_segment_fixed_size: 0
    .kernarg_segment_align: 8
    .kernarg_segment_size: 8
    .language:       OpenCL C
    .language_version:
      - 2
      - 0
    .max_flat_workgroup_size: 256
    .name:           _Z17warp_store_kernelILj256ELj64ELj64ELN6hipcub18WarpStoreAlgorithmE0EdEvPT3_
    .private_segment_fixed_size: 0
    .sgpr_count:     11
    .sgpr_spill_count: 0
    .symbol:         _Z17warp_store_kernelILj256ELj64ELj64ELN6hipcub18WarpStoreAlgorithmE0EdEvPT3_.kd
    .uniform_work_group_size: 1
    .uses_dynamic_stack: false
    .vgpr_count:     8
    .vgpr_spill_count: 0
    .wavefront_size: 64
  - .args:
      - .address_space:  global
        .offset:         0
        .size:           8
        .value_kind:     global_buffer
    .group_segment_fixed_size: 0
    .kernarg_segment_align: 8
    .kernarg_segment_size: 8
    .language:       OpenCL C
    .language_version:
      - 2
      - 0
    .max_flat_workgroup_size: 256
    .name:           _Z17warp_store_kernelILj256ELj64ELj64ELN6hipcub18WarpStoreAlgorithmE1EdEvPT3_
    .private_segment_fixed_size: 0
    .sgpr_count:     11
    .sgpr_spill_count: 0
    .symbol:         _Z17warp_store_kernelILj256ELj64ELj64ELN6hipcub18WarpStoreAlgorithmE1EdEvPT3_.kd
    .uniform_work_group_size: 1
    .uses_dynamic_stack: false
    .vgpr_count:     10
    .vgpr_spill_count: 0
    .wavefront_size: 64
  - .args:
      - .address_space:  global
        .offset:         0
        .size:           8
        .value_kind:     global_buffer
    .group_segment_fixed_size: 0
    .kernarg_segment_align: 8
    .kernarg_segment_size: 8
    .language:       OpenCL C
    .language_version:
      - 2
      - 0
    .max_flat_workgroup_size: 256
    .name:           _Z17warp_store_kernelILj256ELj64ELj64ELN6hipcub18WarpStoreAlgorithmE2EdEvPT3_
    .private_segment_fixed_size: 0
    .sgpr_count:     11
    .sgpr_spill_count: 0
    .symbol:         _Z17warp_store_kernelILj256ELj64ELj64ELN6hipcub18WarpStoreAlgorithmE2EdEvPT3_.kd
    .uniform_work_group_size: 1
    .uses_dynamic_stack: false
    .vgpr_count:     8
    .vgpr_spill_count: 0
    .wavefront_size: 64
amdhsa.target:   amdgcn-amd-amdhsa--gfx906
amdhsa.version:
  - 1
  - 2
...

	.end_amdgpu_metadata
